;; amdgpu-corpus repo=ROCm/rocFFT kind=compiled arch=gfx1030 opt=O3
	.text
	.amdgcn_target "amdgcn-amd-amdhsa--gfx1030"
	.amdhsa_code_object_version 6
	.protected	fft_rtc_fwd_len1625_factors_13_5_5_5_wgs_130_tpt_65_halfLds_dp_ip_CI_sbrr_dirReg ; -- Begin function fft_rtc_fwd_len1625_factors_13_5_5_5_wgs_130_tpt_65_halfLds_dp_ip_CI_sbrr_dirReg
	.globl	fft_rtc_fwd_len1625_factors_13_5_5_5_wgs_130_tpt_65_halfLds_dp_ip_CI_sbrr_dirReg
	.p2align	8
	.type	fft_rtc_fwd_len1625_factors_13_5_5_5_wgs_130_tpt_65_halfLds_dp_ip_CI_sbrr_dirReg,@function
fft_rtc_fwd_len1625_factors_13_5_5_5_wgs_130_tpt_65_halfLds_dp_ip_CI_sbrr_dirReg: ; @fft_rtc_fwd_len1625_factors_13_5_5_5_wgs_130_tpt_65_halfLds_dp_ip_CI_sbrr_dirReg
; %bb.0:
	s_clause 0x2
	s_load_dwordx2 s[14:15], s[4:5], 0x18
	s_load_dwordx4 s[8:11], s[4:5], 0x0
	s_load_dwordx2 s[12:13], s[4:5], 0x50
	v_mul_u32_u24_e32 v1, 0x3f1, v0
	v_mov_b32_e32 v3, 0
	v_lshrrev_b32_e32 v104, 16, v1
	v_mov_b32_e32 v1, 0
	v_mov_b32_e32 v6, v3
	v_mov_b32_e32 v2, 0
	v_lshl_add_u32 v5, s6, 1, v104
	s_waitcnt lgkmcnt(0)
	s_load_dwordx2 s[2:3], s[14:15], 0x0
	v_cmp_lt_u64_e64 s0, s[10:11], 2
	s_and_b32 vcc_lo, exec_lo, s0
	s_cbranch_vccnz .LBB0_8
; %bb.1:
	s_load_dwordx2 s[0:1], s[4:5], 0x10
	v_mov_b32_e32 v1, 0
	s_add_u32 s6, s14, 8
	v_mov_b32_e32 v2, 0
	s_addc_u32 s7, s15, 0
	s_mov_b64 s[18:19], 1
	s_waitcnt lgkmcnt(0)
	s_add_u32 s16, s0, 8
	s_addc_u32 s17, s1, 0
.LBB0_2:                                ; =>This Inner Loop Header: Depth=1
	s_load_dwordx2 s[20:21], s[16:17], 0x0
                                        ; implicit-def: $vgpr7_vgpr8
	s_mov_b32 s0, exec_lo
	s_waitcnt lgkmcnt(0)
	v_or_b32_e32 v4, s21, v6
	v_cmpx_ne_u64_e32 0, v[3:4]
	s_xor_b32 s1, exec_lo, s0
	s_cbranch_execz .LBB0_4
; %bb.3:                                ;   in Loop: Header=BB0_2 Depth=1
	v_cvt_f32_u32_e32 v4, s20
	v_cvt_f32_u32_e32 v7, s21
	s_sub_u32 s0, 0, s20
	s_subb_u32 s22, 0, s21
	v_fmac_f32_e32 v4, 0x4f800000, v7
	v_rcp_f32_e32 v4, v4
	v_mul_f32_e32 v4, 0x5f7ffffc, v4
	v_mul_f32_e32 v7, 0x2f800000, v4
	v_trunc_f32_e32 v7, v7
	v_fmac_f32_e32 v4, 0xcf800000, v7
	v_cvt_u32_f32_e32 v7, v7
	v_cvt_u32_f32_e32 v4, v4
	v_mul_lo_u32 v8, s0, v7
	v_mul_hi_u32 v9, s0, v4
	v_mul_lo_u32 v10, s22, v4
	v_add_nc_u32_e32 v8, v9, v8
	v_mul_lo_u32 v9, s0, v4
	v_add_nc_u32_e32 v8, v8, v10
	v_mul_hi_u32 v10, v4, v9
	v_mul_lo_u32 v11, v4, v8
	v_mul_hi_u32 v12, v4, v8
	v_mul_hi_u32 v13, v7, v9
	v_mul_lo_u32 v9, v7, v9
	v_mul_hi_u32 v14, v7, v8
	v_mul_lo_u32 v8, v7, v8
	v_add_co_u32 v10, vcc_lo, v10, v11
	v_add_co_ci_u32_e32 v11, vcc_lo, 0, v12, vcc_lo
	v_add_co_u32 v9, vcc_lo, v10, v9
	v_add_co_ci_u32_e32 v9, vcc_lo, v11, v13, vcc_lo
	v_add_co_ci_u32_e32 v10, vcc_lo, 0, v14, vcc_lo
	v_add_co_u32 v8, vcc_lo, v9, v8
	v_add_co_ci_u32_e32 v9, vcc_lo, 0, v10, vcc_lo
	v_add_co_u32 v4, vcc_lo, v4, v8
	v_add_co_ci_u32_e32 v7, vcc_lo, v7, v9, vcc_lo
	v_mul_hi_u32 v8, s0, v4
	v_mul_lo_u32 v10, s22, v4
	v_mul_lo_u32 v9, s0, v7
	v_add_nc_u32_e32 v8, v8, v9
	v_mul_lo_u32 v9, s0, v4
	v_add_nc_u32_e32 v8, v8, v10
	v_mul_hi_u32 v10, v4, v9
	v_mul_lo_u32 v11, v4, v8
	v_mul_hi_u32 v12, v4, v8
	v_mul_hi_u32 v13, v7, v9
	v_mul_lo_u32 v9, v7, v9
	v_mul_hi_u32 v14, v7, v8
	v_mul_lo_u32 v8, v7, v8
	v_add_co_u32 v10, vcc_lo, v10, v11
	v_add_co_ci_u32_e32 v11, vcc_lo, 0, v12, vcc_lo
	v_add_co_u32 v9, vcc_lo, v10, v9
	v_add_co_ci_u32_e32 v9, vcc_lo, v11, v13, vcc_lo
	v_add_co_ci_u32_e32 v10, vcc_lo, 0, v14, vcc_lo
	v_add_co_u32 v8, vcc_lo, v9, v8
	v_add_co_ci_u32_e32 v9, vcc_lo, 0, v10, vcc_lo
	v_add_co_u32 v4, vcc_lo, v4, v8
	v_add_co_ci_u32_e32 v11, vcc_lo, v7, v9, vcc_lo
	v_mul_hi_u32 v13, v5, v4
	v_mad_u64_u32 v[9:10], null, v6, v4, 0
	v_mad_u64_u32 v[7:8], null, v5, v11, 0
	;; [unrolled: 1-line block ×3, first 2 shown]
	v_add_co_u32 v4, vcc_lo, v13, v7
	v_add_co_ci_u32_e32 v7, vcc_lo, 0, v8, vcc_lo
	v_add_co_u32 v4, vcc_lo, v4, v9
	v_add_co_ci_u32_e32 v4, vcc_lo, v7, v10, vcc_lo
	v_add_co_ci_u32_e32 v7, vcc_lo, 0, v12, vcc_lo
	v_add_co_u32 v4, vcc_lo, v4, v11
	v_add_co_ci_u32_e32 v9, vcc_lo, 0, v7, vcc_lo
	v_mul_lo_u32 v10, s21, v4
	v_mad_u64_u32 v[7:8], null, s20, v4, 0
	v_mul_lo_u32 v11, s20, v9
	v_sub_co_u32 v7, vcc_lo, v5, v7
	v_add3_u32 v8, v8, v11, v10
	v_sub_nc_u32_e32 v10, v6, v8
	v_subrev_co_ci_u32_e64 v10, s0, s21, v10, vcc_lo
	v_add_co_u32 v11, s0, v4, 2
	v_add_co_ci_u32_e64 v12, s0, 0, v9, s0
	v_sub_co_u32 v13, s0, v7, s20
	v_sub_co_ci_u32_e32 v8, vcc_lo, v6, v8, vcc_lo
	v_subrev_co_ci_u32_e64 v10, s0, 0, v10, s0
	v_cmp_le_u32_e32 vcc_lo, s20, v13
	v_cmp_eq_u32_e64 s0, s21, v8
	v_cndmask_b32_e64 v13, 0, -1, vcc_lo
	v_cmp_le_u32_e32 vcc_lo, s21, v10
	v_cndmask_b32_e64 v14, 0, -1, vcc_lo
	v_cmp_le_u32_e32 vcc_lo, s20, v7
	;; [unrolled: 2-line block ×3, first 2 shown]
	v_cndmask_b32_e64 v15, 0, -1, vcc_lo
	v_cmp_eq_u32_e32 vcc_lo, s21, v10
	v_cndmask_b32_e64 v7, v15, v7, s0
	v_cndmask_b32_e32 v10, v14, v13, vcc_lo
	v_add_co_u32 v13, vcc_lo, v4, 1
	v_add_co_ci_u32_e32 v14, vcc_lo, 0, v9, vcc_lo
	v_cmp_ne_u32_e32 vcc_lo, 0, v10
	v_cndmask_b32_e32 v8, v14, v12, vcc_lo
	v_cndmask_b32_e32 v10, v13, v11, vcc_lo
	v_cmp_ne_u32_e32 vcc_lo, 0, v7
	v_cndmask_b32_e32 v8, v9, v8, vcc_lo
	v_cndmask_b32_e32 v7, v4, v10, vcc_lo
.LBB0_4:                                ;   in Loop: Header=BB0_2 Depth=1
	s_andn2_saveexec_b32 s0, s1
	s_cbranch_execz .LBB0_6
; %bb.5:                                ;   in Loop: Header=BB0_2 Depth=1
	v_cvt_f32_u32_e32 v4, s20
	s_sub_i32 s1, 0, s20
	v_rcp_iflag_f32_e32 v4, v4
	v_mul_f32_e32 v4, 0x4f7ffffe, v4
	v_cvt_u32_f32_e32 v4, v4
	v_mul_lo_u32 v7, s1, v4
	v_mul_hi_u32 v7, v4, v7
	v_add_nc_u32_e32 v4, v4, v7
	v_mul_hi_u32 v4, v5, v4
	v_mul_lo_u32 v7, v4, s20
	v_add_nc_u32_e32 v8, 1, v4
	v_sub_nc_u32_e32 v7, v5, v7
	v_subrev_nc_u32_e32 v9, s20, v7
	v_cmp_le_u32_e32 vcc_lo, s20, v7
	v_cndmask_b32_e32 v7, v7, v9, vcc_lo
	v_cndmask_b32_e32 v4, v4, v8, vcc_lo
	v_cmp_le_u32_e32 vcc_lo, s20, v7
	v_add_nc_u32_e32 v8, 1, v4
	v_cndmask_b32_e32 v7, v4, v8, vcc_lo
	v_mov_b32_e32 v8, v3
.LBB0_6:                                ;   in Loop: Header=BB0_2 Depth=1
	s_or_b32 exec_lo, exec_lo, s0
	s_load_dwordx2 s[0:1], s[6:7], 0x0
	v_mul_lo_u32 v4, v8, s20
	v_mul_lo_u32 v11, v7, s21
	v_mad_u64_u32 v[9:10], null, v7, s20, 0
	s_add_u32 s18, s18, 1
	s_addc_u32 s19, s19, 0
	s_add_u32 s6, s6, 8
	s_addc_u32 s7, s7, 0
	s_add_u32 s16, s16, 8
	s_addc_u32 s17, s17, 0
	v_add3_u32 v4, v10, v11, v4
	v_sub_co_u32 v5, vcc_lo, v5, v9
	v_sub_co_ci_u32_e32 v4, vcc_lo, v6, v4, vcc_lo
	s_waitcnt lgkmcnt(0)
	v_mul_lo_u32 v6, s1, v5
	v_mul_lo_u32 v4, s0, v4
	v_mad_u64_u32 v[1:2], null, s0, v5, v[1:2]
	v_cmp_ge_u64_e64 s0, s[18:19], s[10:11]
	s_and_b32 vcc_lo, exec_lo, s0
	v_add3_u32 v2, v6, v2, v4
	s_cbranch_vccnz .LBB0_9
; %bb.7:                                ;   in Loop: Header=BB0_2 Depth=1
	v_mov_b32_e32 v5, v7
	v_mov_b32_e32 v6, v8
	s_branch .LBB0_2
.LBB0_8:
	v_mov_b32_e32 v8, v6
	v_mov_b32_e32 v7, v5
.LBB0_9:
	s_lshl_b64 s[0:1], s[10:11], 3
	v_mul_hi_u32 v5, 0x3f03f04, v0
	s_add_u32 s0, s14, s0
	s_addc_u32 s1, s15, s1
                                        ; implicit-def: $vgpr10_vgpr11
                                        ; implicit-def: $vgpr18_vgpr19
                                        ; implicit-def: $vgpr22_vgpr23
                                        ; implicit-def: $vgpr38_vgpr39
                                        ; implicit-def: $vgpr30_vgpr31
                                        ; implicit-def: $vgpr42_vgpr43
                                        ; implicit-def: $vgpr14_vgpr15
                                        ; implicit-def: $vgpr34_vgpr35
                                        ; implicit-def: $vgpr26_vgpr27
                                        ; implicit-def: $vgpr58_vgpr59
                                        ; implicit-def: $vgpr74_vgpr75
                                        ; implicit-def: $vgpr50_vgpr51
                                        ; implicit-def: $vgpr54_vgpr55
                                        ; implicit-def: $vgpr62_vgpr63
                                        ; implicit-def: $vgpr70_vgpr71
                                        ; implicit-def: $vgpr90_vgpr91
                                        ; implicit-def: $vgpr86_vgpr87
                                        ; implicit-def: $vgpr98_vgpr99
                                        ; implicit-def: $vgpr66_vgpr67
                                        ; implicit-def: $vgpr82_vgpr83
                                        ; implicit-def: $vgpr78_vgpr79
                                        ; implicit-def: $vgpr94_vgpr95
                                        ; implicit-def: $vgpr102_vgpr103
                                        ; implicit-def: $vgpr46_vgpr47
	s_load_dwordx2 s[0:1], s[0:1], 0x0
	s_load_dwordx2 s[4:5], s[4:5], 0x20
	s_waitcnt lgkmcnt(0)
	v_mul_lo_u32 v3, s0, v8
	v_mul_lo_u32 v4, s1, v7
	v_mad_u64_u32 v[1:2], null, s0, v7, v[1:2]
	v_cmp_gt_u64_e32 vcc_lo, s[4:5], v[7:8]
                                        ; implicit-def: $vgpr6_vgpr7
	v_add3_u32 v2, v4, v2, v3
	v_mul_u32_u24_e32 v3, 0x41, v5
	v_lshlrev_b64 v[168:169], 4, v[1:2]
	v_sub_nc_u32_e32 v176, v0, v3
                                        ; implicit-def: $vgpr2_vgpr3
	s_and_saveexec_b32 s1, vcc_lo
	s_cbranch_execz .LBB0_13
; %bb.10:
	v_add_nc_u32_e32 v6, 0x7d, v176
	v_mad_u64_u32 v[0:1], null, s2, v176, 0
	v_add_nc_u32_e32 v12, 0xfa, v176
	v_add_nc_u32_e32 v13, 0x177, v176
	v_mad_u64_u32 v[2:3], null, s2, v6, 0
	v_add_nc_u32_e32 v14, 0x1f4, v176
	v_mad_u64_u32 v[8:9], null, s2, v12, 0
	v_mad_u64_u32 v[10:11], null, s2, v13, 0
	v_add_nc_u32_e32 v16, 0x271, v176
	v_mad_u64_u32 v[4:5], null, s3, v176, v[1:2]
	v_mov_b32_e32 v1, v3
	v_add_nc_u32_e32 v17, 0x2ee, v176
	v_add_nc_u32_e32 v18, 0x36b, v176
	v_add_nc_u32_e32 v19, 0x4e2, v176
	v_add_nc_u32_e32 v20, 0x55f, v176
	v_mad_u64_u32 v[5:6], null, s3, v6, v[1:2]
	v_mov_b32_e32 v1, v4
	v_mov_b32_e32 v4, v9
	v_add_co_u32 v6, s0, s12, v168
	v_add_co_ci_u32_e64 v7, s0, s13, v169, s0
	v_mov_b32_e32 v3, v5
	v_mov_b32_e32 v5, v11
	v_lshlrev_b64 v[0:1], 4, v[0:1]
	s_mov_b32 s4, exec_lo
                                        ; implicit-def: $vgpr72_vgpr73
                                        ; implicit-def: $vgpr56_vgpr57
                                        ; implicit-def: $vgpr24_vgpr25
                                        ; implicit-def: $vgpr32_vgpr33
                                        ; implicit-def: $vgpr40_vgpr41
                                        ; implicit-def: $vgpr28_vgpr29
                                        ; implicit-def: $vgpr36_vgpr37
	v_lshlrev_b64 v[2:3], 4, v[2:3]
	v_mad_u64_u32 v[11:12], null, s3, v12, v[4:5]
	v_add_co_u32 v0, s0, v6, v0
	v_mad_u64_u32 v[4:5], null, s3, v13, v[5:6]
	v_add_co_ci_u32_e64 v1, s0, v7, v1, s0
	v_add_co_u32 v2, s0, v6, v2
	v_mad_u64_u32 v[12:13], null, s2, v14, 0
	v_add_co_ci_u32_e64 v3, s0, v7, v3, s0
	v_mov_b32_e32 v9, v11
	s_clause 0x1
	global_load_dwordx4 v[44:47], v[0:1], off
	global_load_dwordx4 v[100:103], v[2:3], off
	v_mov_b32_e32 v11, v4
	v_mad_u64_u32 v[3:4], null, s2, v16, 0
	v_lshlrev_b64 v[0:1], 4, v[8:9]
	v_mov_b32_e32 v2, v13
	v_lshlrev_b64 v[8:9], 4, v[10:11]
	v_add_co_u32 v0, s0, v6, v0
	v_mad_u64_u32 v[10:11], null, s3, v14, v[2:3]
	v_mov_b32_e32 v2, v4
	v_mad_u64_u32 v[14:15], null, s2, v17, 0
	v_add_co_ci_u32_e64 v1, s0, v7, v1, s0
	v_add_co_u32 v4, s0, v6, v8
	v_add_co_ci_u32_e64 v5, s0, v7, v9, s0
	v_mad_u64_u32 v[8:9], null, s3, v16, v[2:3]
	v_mov_b32_e32 v13, v10
	v_mov_b32_e32 v2, v15
	v_mad_u64_u32 v[9:10], null, s2, v18, 0
	s_clause 0x1
	global_load_dwordx4 v[92:95], v[0:1], off
	global_load_dwordx4 v[76:79], v[4:5], off
	v_lshlrev_b64 v[0:1], 4, v[12:13]
	v_mad_u64_u32 v[11:12], null, s3, v17, v[2:3]
	v_mov_b32_e32 v4, v8
	v_add_nc_u32_e32 v8, 0x3e8, v176
	v_mov_b32_e32 v2, v10
	v_add_co_u32 v0, s0, v6, v0
	v_lshlrev_b64 v[3:4], 4, v[3:4]
	v_mov_b32_e32 v15, v11
	v_add_co_ci_u32_e64 v1, s0, v7, v1, s0
	v_add_nc_u32_e32 v17, 0x465, v176
	v_mad_u64_u32 v[10:11], null, s3, v18, v[2:3]
	v_add_co_u32 v2, s0, v6, v3
	v_mad_u64_u32 v[11:12], null, s2, v8, 0
	v_add_co_ci_u32_e64 v3, s0, v7, v4, s0
	v_lshlrev_b64 v[4:5], 4, v[14:15]
	s_clause 0x1
	global_load_dwordx4 v[80:83], v[0:1], off
	global_load_dwordx4 v[64:67], v[2:3], off
	v_mad_u64_u32 v[13:14], null, s2, v19, 0
	v_mov_b32_e32 v2, v12
	v_add_co_u32 v0, s0, v6, v4
	v_lshlrev_b64 v[3:4], 4, v[9:10]
	v_add_co_ci_u32_e64 v1, s0, v7, v5, s0
	v_mov_b32_e32 v5, v14
	v_mad_u64_u32 v[15:16], null, s2, v20, 0
	v_mad_u64_u32 v[8:9], null, s3, v8, v[2:3]
	;; [unrolled: 1-line block ×3, first 2 shown]
	v_add_co_u32 v2, s0, v6, v3
	v_add_co_ci_u32_e64 v3, s0, v7, v4, s0
	v_mov_b32_e32 v12, v8
	v_add_nc_u32_e32 v8, 0x5dc, v176
	v_mov_b32_e32 v4, v10
	s_clause 0x1
	global_load_dwordx4 v[96:99], v[0:1], off
	global_load_dwordx4 v[84:87], v[2:3], off
	v_mov_b32_e32 v0, v16
	v_lshlrev_b64 v[1:2], 4, v[11:12]
	v_mad_u64_u32 v[17:18], null, s3, v17, v[4:5]
	v_mad_u64_u32 v[4:5], null, s3, v19, v[5:6]
	;; [unrolled: 1-line block ×3, first 2 shown]
	v_mov_b32_e32 v10, v17
	v_mov_b32_e32 v14, v4
	v_mad_u64_u32 v[3:4], null, s3, v20, v[0:1]
	v_mov_b32_e32 v0, v19
	v_add_co_u32 v1, s0, v6, v1
	v_lshlrev_b64 v[4:5], 4, v[9:10]
	v_add_co_ci_u32_e64 v2, s0, v7, v2, s0
	v_mad_u64_u32 v[8:9], null, s3, v8, v[0:1]
	v_mov_b32_e32 v16, v3
	v_lshlrev_b64 v[9:10], 4, v[13:14]
	v_add_co_u32 v3, s0, v6, v4
	v_add_co_ci_u32_e64 v4, s0, v7, v5, s0
	v_mov_b32_e32 v19, v8
	v_lshlrev_b64 v[11:12], 4, v[15:16]
	v_add_co_u32 v8, s0, v6, v9
	v_add_co_ci_u32_e64 v9, s0, v7, v10, s0
	v_lshlrev_b64 v[13:14], 4, v[18:19]
	v_add_co_u32 v10, s0, v6, v11
	v_add_co_ci_u32_e64 v11, s0, v7, v12, s0
                                        ; implicit-def: $vgpr20_vgpr21
                                        ; implicit-def: $vgpr16_vgpr17
	v_add_co_u32 v12, s0, v6, v13
	v_add_co_ci_u32_e64 v13, s0, v7, v14, s0
	s_clause 0x4
	global_load_dwordx4 v[88:91], v[1:2], off
	global_load_dwordx4 v[68:71], v[3:4], off
	;; [unrolled: 1-line block ×5, first 2 shown]
                                        ; implicit-def: $vgpr0_vgpr1
                                        ; implicit-def: $vgpr12_vgpr13
                                        ; implicit-def: $vgpr8_vgpr9
                                        ; implicit-def: $vgpr4_vgpr5
	v_cmpx_gt_u32_e32 60, v176
	s_cbranch_execz .LBB0_12
; %bb.11:
	v_add_nc_u32_e32 v4, 0x41, v176
	v_add_nc_u32_e32 v12, 0xbe, v176
	;; [unrolled: 1-line block ×5, first 2 shown]
	v_mad_u64_u32 v[0:1], null, s2, v4, 0
	v_mad_u64_u32 v[2:3], null, s2, v12, 0
	;; [unrolled: 1-line block ×4, first 2 shown]
	v_add_nc_u32_e32 v17, 0x2b2, v176
	v_add_nc_u32_e32 v19, 0x32f, v176
	v_mad_u64_u32 v[4:5], null, s3, v4, v[1:2]
	v_add_nc_u32_e32 v20, 0x3ac, v176
	v_add_nc_u32_e32 v23, 0x429, v176
	;; [unrolled: 1-line block ×4, first 2 shown]
	v_mad_u64_u32 v[12:13], null, s3, v12, v[3:4]
	v_mov_b32_e32 v1, v4
	v_mad_u64_u32 v[4:5], null, s2, v16, 0
	v_mad_u64_u32 v[21:22], null, s2, v23, 0
	v_lshlrev_b64 v[0:1], 4, v[0:1]
	v_mov_b32_e32 v3, v12
	v_mad_u64_u32 v[12:13], null, s3, v14, v[9:10]
	v_lshlrev_b64 v[2:3], 4, v[2:3]
	v_add_co_u32 v0, s0, v6, v0
	v_add_co_ci_u32_e64 v1, s0, v7, v1, s0
	v_mad_u64_u32 v[13:14], null, s3, v15, v[11:12]
	v_add_co_u32 v14, s0, v6, v2
	v_mov_b32_e32 v9, v12
	v_add_co_ci_u32_e64 v15, s0, v7, v3, s0
	s_clause 0x1
	global_load_dwordx4 v[0:3], v[0:1], off
	global_load_dwordx4 v[72:75], v[14:15], off
	v_mov_b32_e32 v11, v13
	v_lshlrev_b64 v[8:9], 4, v[8:9]
	v_mad_u64_u32 v[12:13], null, s2, v17, 0
	v_mad_u64_u32 v[14:15], null, s3, v16, v[5:6]
	;; [unrolled: 1-line block ×3, first 2 shown]
	v_lshlrev_b64 v[10:11], 4, v[10:11]
	v_add_co_u32 v8, s0, v6, v8
	v_add_co_ci_u32_e64 v9, s0, v7, v9, s0
	v_mov_b32_e32 v5, v14
	v_add_co_u32 v10, s0, v6, v10
	v_mad_u64_u32 v[13:14], null, s3, v17, v[13:14]
	v_mad_u64_u32 v[17:18], null, s2, v20, 0
	v_mov_b32_e32 v14, v16
	v_add_co_ci_u32_e64 v11, s0, v7, v11, s0
	s_clause 0x1
	global_load_dwordx4 v[56:59], v[8:9], off
	global_load_dwordx4 v[24:27], v[10:11], off
	v_lshlrev_b64 v[4:5], 4, v[4:5]
	v_mad_u64_u32 v[8:9], null, s3, v19, v[14:15]
	v_lshlrev_b64 v[10:11], 4, v[12:13]
	v_mov_b32_e32 v9, v18
	v_add_co_u32 v4, s0, v6, v4
	v_add_co_ci_u32_e64 v5, s0, v7, v5, s0
	v_mov_b32_e32 v16, v8
	v_mad_u64_u32 v[8:9], null, s3, v20, v[9:10]
	v_add_co_u32 v9, s0, v6, v10
	v_add_co_ci_u32_e64 v10, s0, v7, v11, s0
	v_lshlrev_b64 v[19:20], 4, v[15:16]
	s_clause 0x1
	global_load_dwordx4 v[32:35], v[4:5], off
	global_load_dwordx4 v[12:15], v[9:10], off
	v_mov_b32_e32 v18, v8
	v_mov_b32_e32 v8, v22
	v_add_co_u32 v4, s0, v6, v19
	v_lshlrev_b64 v[9:10], 4, v[17:18]
	v_add_co_ci_u32_e64 v5, s0, v7, v20, s0
	v_mad_u64_u32 v[19:20], null, s2, v29, 0
	v_mad_u64_u32 v[16:17], null, s3, v23, v[8:9]
	;; [unrolled: 1-line block ×3, first 2 shown]
	v_add_nc_u32_e32 v23, 0x5a0, v176
	v_add_co_u32 v8, s0, v6, v9
	v_add_co_ci_u32_e64 v9, s0, v7, v10, s0
	v_mad_u64_u32 v[36:37], null, s2, v23, 0
	v_mov_b32_e32 v22, v16
	v_mov_b32_e32 v10, v18
	v_mov_b32_e32 v11, v20
	v_add_nc_u32_e32 v16, 0x61d, v176
	v_mad_u64_u32 v[38:39], null, s3, v28, v[10:11]
	v_mad_u64_u32 v[105:106], null, s2, v16, 0
	v_mov_b32_e32 v18, v38
	s_waitcnt vmcnt(0)
	v_mad_u64_u32 v[10:11], null, s3, v29, v[11:12]
	s_clause 0x1
	global_load_dwordx4 v[40:43], v[4:5], off
	global_load_dwordx4 v[28:31], v[8:9], off
	v_mov_b32_e32 v4, v37
	v_lshlrev_b64 v[8:9], 4, v[21:22]
	v_mad_u64_u32 v[4:5], null, s3, v23, v[4:5]
	v_mov_b32_e32 v5, v106
	v_mov_b32_e32 v20, v10
	v_lshlrev_b64 v[10:11], 4, v[17:18]
	v_add_co_u32 v8, s0, v6, v8
	v_mad_u64_u32 v[16:17], null, s3, v16, v[5:6]
	v_lshlrev_b64 v[17:18], 4, v[19:20]
	v_mov_b32_e32 v37, v4
	v_add_co_ci_u32_e64 v9, s0, v7, v9, s0
	v_add_co_u32 v4, s0, v6, v10
	v_mov_b32_e32 v106, v16
	v_add_co_ci_u32_e64 v5, s0, v7, v11, s0
	v_lshlrev_b64 v[10:11], 4, v[36:37]
	v_add_co_u32 v16, s0, v6, v17
	v_add_co_ci_u32_e64 v17, s0, v7, v18, s0
	v_lshlrev_b64 v[18:19], 4, v[105:106]
	v_add_co_u32 v10, s0, v6, v10
	v_add_co_ci_u32_e64 v11, s0, v7, v11, s0
	v_add_co_u32 v6, s0, v6, v18
	v_add_co_ci_u32_e64 v7, s0, v7, v19, s0
	s_clause 0x4
	global_load_dwordx4 v[36:39], v[8:9], off
	global_load_dwordx4 v[20:23], v[4:5], off
	;; [unrolled: 1-line block ×5, first 2 shown]
.LBB0_12:
	s_or_b32 exec_lo, exec_lo, s4
.LBB0_13:
	s_or_b32 exec_lo, exec_lo, s1
	s_waitcnt vmcnt(11)
	v_add_f64 v[107:108], v[100:101], v[44:45]
	s_waitcnt vmcnt(0)
	v_add_f64 v[105:106], v[48:49], v[100:101]
	s_mov_b32 s4, 0xe00740e9
	s_mov_b32 s5, 0x3fec55a7
	v_add_f64 v[109:110], v[102:103], -v[50:51]
	v_add_f64 v[111:112], v[52:53], v[92:93]
	s_mov_b32 s18, 0x4267c47c
	s_mov_b32 s6, 0x1ea71119
	;; [unrolled: 1-line block ×12, first 2 shown]
	v_add_f64 v[117:118], v[94:95], -v[54:55]
	s_mov_b32 s22, 0x42a4c3d2
	s_mov_b32 s26, 0x66966769
	;; [unrolled: 1-line block ×3, first 2 shown]
	v_add_f64 v[107:108], v[92:93], v[107:108]
	v_mul_f64 v[113:114], v[105:106], s[4:5]
	v_mul_f64 v[115:116], v[105:106], s[6:7]
	;; [unrolled: 1-line block ×6, first 2 shown]
	s_mov_b32 s38, 0x24c2f84
	s_mov_b32 s20, 0x93053d00
	;; [unrolled: 1-line block ×15, first 2 shown]
	v_add_f64 v[107:108], v[76:77], v[107:108]
	v_fma_f64 v[127:128], v[109:110], s[18:19], v[113:114]
	v_fma_f64 v[113:114], v[109:110], s[28:29], v[113:114]
	v_add_f64 v[129:130], v[60:61], v[76:77]
	v_mul_f64 v[133:134], v[111:112], s[14:15]
	v_fma_f64 v[135:136], v[109:110], s[22:23], v[115:116]
	v_mul_f64 v[105:106], v[105:106], s[20:21]
	v_mul_f64 v[137:138], v[111:112], s[20:21]
	;; [unrolled: 1-line block ×3, first 2 shown]
	v_fma_f64 v[115:116], v[109:110], s[24:25], v[115:116]
	v_fma_f64 v[141:142], v[109:110], s[26:27], v[119:120]
	;; [unrolled: 1-line block ×8, first 2 shown]
	v_mul_f64 v[149:150], v[111:112], s[10:11]
	v_fma_f64 v[123:124], v[109:110], s[36:37], v[123:124]
	s_mov_b32 s44, 0x4bc48dbf
	s_mov_b32 s45, 0x3fcea1e5
	;; [unrolled: 1-line block ×3, first 2 shown]
	v_add_f64 v[107:108], v[80:81], v[107:108]
	v_add_f64 v[127:128], v[44:45], v[127:128]
	;; [unrolled: 1-line block ×3, first 2 shown]
	s_mov_b32 s42, s44
	v_add_f64 v[131:132], v[78:79], -v[62:63]
	v_mul_f64 v[111:112], v[111:112], s[4:5]
	v_mul_f64 v[151:152], v[129:130], s[10:11]
	v_fma_f64 v[153:154], v[117:118], s[40:41], v[133:134]
	v_add_f64 v[135:136], v[44:45], v[135:136]
	v_fma_f64 v[155:156], v[109:110], s[44:45], v[105:106]
	v_fma_f64 v[105:106], v[109:110], s[42:43], v[105:106]
	;; [unrolled: 1-line block ×6, first 2 shown]
	v_add_f64 v[115:116], v[44:45], v[115:116]
	v_add_f64 v[141:142], v[44:45], v[141:142]
	;; [unrolled: 1-line block ×6, first 2 shown]
	v_mul_f64 v[159:160], v[129:130], s[14:15]
	v_add_f64 v[107:108], v[64:65], v[107:108]
	v_add_f64 v[127:128], v[147:148], v[127:128]
	;; [unrolled: 1-line block ×3, first 2 shown]
	v_fma_f64 v[125:126], v[117:118], s[38:39], v[139:140]
	v_mul_f64 v[139:140], v[129:130], s[20:21]
	v_fma_f64 v[147:148], v[117:118], s[34:35], v[149:150]
	v_fma_f64 v[149:150], v[117:118], s[26:27], v[149:150]
	v_add_f64 v[123:124], v[44:45], v[123:124]
	v_add_f64 v[161:162], v[68:69], v[80:81]
	;; [unrolled: 1-line block ×3, first 2 shown]
	v_fma_f64 v[153:154], v[117:118], s[28:29], v[111:112]
	v_mul_f64 v[163:164], v[129:130], s[4:5]
	v_fma_f64 v[111:112], v[117:118], s[18:19], v[111:112]
	v_add_f64 v[117:118], v[44:45], v[155:156]
	v_add_f64 v[44:45], v[44:45], v[105:106]
	v_mul_f64 v[105:106], v[129:130], s[6:7]
	v_add_f64 v[109:110], v[109:110], v[115:116]
	v_fma_f64 v[115:116], v[131:132], s[26:27], v[151:152]
	v_add_f64 v[133:134], v[133:134], v[141:142]
	v_add_f64 v[119:120], v[137:138], v[119:120]
	v_mul_f64 v[129:130], v[129:130], s[16:17]
	v_add_f64 v[137:138], v[157:158], v[143:144]
	v_add_f64 v[107:108], v[96:97], v[107:108]
	v_fma_f64 v[141:142], v[131:132], s[34:35], v[151:152]
	v_add_f64 v[121:122], v[125:126], v[121:122]
	v_fma_f64 v[125:126], v[131:132], s[44:45], v[139:140]
	v_fma_f64 v[139:140], v[131:132], s[42:43], v[139:140]
	v_add_f64 v[143:144], v[147:148], v[145:146]
	v_fma_f64 v[145:146], v[131:132], s[30:31], v[159:160]
	v_add_f64 v[123:124], v[149:150], v[123:124]
	v_add_f64 v[149:150], v[82:83], -v[70:71]
	v_mul_f64 v[151:152], v[161:162], s[14:15]
	v_fma_f64 v[147:148], v[131:132], s[40:41], v[159:160]
	v_fma_f64 v[155:156], v[131:132], s[28:29], v[163:164]
	;; [unrolled: 1-line block ×3, first 2 shown]
	v_add_f64 v[117:118], v[153:154], v[117:118]
	v_mul_f64 v[153:154], v[161:162], s[16:17]
	v_fma_f64 v[159:160], v[131:132], s[22:23], v[105:106]
	v_add_f64 v[44:45], v[111:112], v[44:45]
	v_add_f64 v[111:112], v[115:116], v[127:128]
	;; [unrolled: 1-line block ×3, first 2 shown]
	v_fma_f64 v[105:106], v[131:132], s[24:25], v[105:106]
	v_fma_f64 v[127:128], v[131:132], s[38:39], v[129:130]
	v_add_f64 v[107:108], v[84:85], v[107:108]
	v_mul_f64 v[163:164], v[161:162], s[4:5]
	v_add_f64 v[113:114], v[141:142], v[113:114]
	v_mul_f64 v[141:142], v[161:162], s[10:11]
	v_add_f64 v[125:126], v[125:126], v[135:136]
	v_add_f64 v[109:110], v[139:140], v[109:110]
	v_fma_f64 v[129:130], v[131:132], s[36:37], v[129:130]
	v_mul_f64 v[131:132], v[161:162], s[20:21]
	v_add_f64 v[133:134], v[145:146], v[133:134]
	v_mul_f64 v[135:136], v[161:162], s[6:7]
	v_fma_f64 v[139:140], v[149:150], s[40:41], v[151:152]
	v_fma_f64 v[145:146], v[149:150], s[30:31], v[151:152]
	v_add_f64 v[119:120], v[147:148], v[119:120]
	v_add_f64 v[137:138], v[155:156], v[137:138]
	;; [unrolled: 1-line block ×3, first 2 shown]
	v_fma_f64 v[147:148], v[149:150], s[36:37], v[153:154]
	v_add_f64 v[143:144], v[159:160], v[143:144]
	v_fma_f64 v[151:152], v[149:150], s[38:39], v[153:154]
	v_add_f64 v[153:154], v[66:67], -v[90:91]
	v_mul_f64 v[155:156], v[115:116], s[16:17]
	v_add_f64 v[105:106], v[105:106], v[123:124]
	v_add_f64 v[117:118], v[127:128], v[117:118]
	;; [unrolled: 1-line block ×3, first 2 shown]
	v_fma_f64 v[123:124], v[149:150], s[28:29], v[163:164]
	v_fma_f64 v[127:128], v[149:150], s[18:19], v[163:164]
	;; [unrolled: 1-line block ×4, first 2 shown]
	v_mul_f64 v[159:160], v[115:116], s[10:11]
	v_add_f64 v[44:45], v[129:130], v[44:45]
	v_fma_f64 v[129:130], v[149:150], s[42:43], v[131:132]
	v_mul_f64 v[161:162], v[115:116], s[6:7]
	v_fma_f64 v[131:132], v[149:150], s[44:45], v[131:132]
	v_fma_f64 v[163:164], v[149:150], s[24:25], v[135:136]
	;; [unrolled: 1-line block ×3, first 2 shown]
	v_add_f64 v[111:112], v[139:140], v[111:112]
	v_mul_f64 v[139:140], v[115:116], s[20:21]
	v_add_f64 v[113:114], v[145:146], v[113:114]
	v_mul_f64 v[145:146], v[115:116], s[4:5]
	v_mul_f64 v[115:116], v[115:116], s[14:15]
	v_add_f64 v[149:150], v[84:85], v[96:97]
	v_add_f64 v[125:126], v[147:148], v[125:126]
	;; [unrolled: 1-line block ×3, first 2 shown]
	v_fma_f64 v[147:148], v[153:154], s[38:39], v[155:156]
	v_fma_f64 v[151:152], v[153:154], s[36:37], v[155:156]
	v_add_f64 v[107:108], v[68:69], v[107:108]
	v_add_f64 v[123:124], v[123:124], v[133:134]
	;; [unrolled: 1-line block ×5, first 2 shown]
	v_fma_f64 v[133:134], v[153:154], s[34:35], v[159:160]
	v_fma_f64 v[137:138], v[153:154], s[26:27], v[159:160]
	v_add_f64 v[129:130], v[129:130], v[143:144]
	v_fma_f64 v[141:142], v[153:154], s[22:23], v[161:162]
	v_add_f64 v[105:106], v[131:132], v[105:106]
	v_fma_f64 v[131:132], v[153:154], s[24:25], v[161:162]
	v_add_f64 v[44:45], v[135:136], v[44:45]
	v_add_f64 v[117:118], v[163:164], v[117:118]
	v_fma_f64 v[135:136], v[153:154], s[42:43], v[139:140]
	v_fma_f64 v[139:140], v[153:154], s[44:45], v[139:140]
	;; [unrolled: 1-line block ×6, first 2 shown]
	v_add_f64 v[153:154], v[98:99], -v[86:87]
	v_mul_f64 v[157:158], v[149:150], s[20:21]
	v_mul_f64 v[159:160], v[149:150], s[4:5]
	;; [unrolled: 1-line block ×6, first 2 shown]
	v_add_f64 v[107:108], v[60:61], v[107:108]
	v_add_f64 v[111:112], v[147:148], v[111:112]
	;; [unrolled: 1-line block ×13, first 2 shown]
	v_fma_f64 v[115:116], v[153:154], s[44:45], v[157:158]
	v_fma_f64 v[133:134], v[153:154], s[28:29], v[159:160]
	;; [unrolled: 1-line block ×11, first 2 shown]
	v_add_f64 v[107:108], v[52:53], v[107:108]
	v_fma_f64 v[131:132], v[153:154], s[42:43], v[157:158]
	v_add_f64 v[111:112], v[115:116], v[111:112]
	v_add_f64 v[115:116], v[133:134], v[125:126]
	;; [unrolled: 1-line block ×7, first 2 shown]
	v_and_b32_e32 v44, 1, v104
	v_add_f64 v[121:122], v[141:142], v[121:122]
	v_add_f64 v[105:106], v[149:150], v[105:106]
	;; [unrolled: 1-line block ×6, first 2 shown]
	v_cmp_eq_u32_e64 s0, 1, v44
	v_mad_u32_u24 v45, 0x68, v176, 0
	v_cndmask_b32_e64 v44, 0, 0x659, s0
	v_cmp_gt_u32_e64 s0, 60, v176
	v_lshl_add_u32 v104, v44, 3, v45
	ds_write2_b64 v104, v[115:116], v[123:124] offset0:2 offset1:3
	ds_write2_b64 v104, v[125:126], v[127:128] offset0:4 offset1:5
	;; [unrolled: 1-line block ×5, first 2 shown]
	ds_write2_b64 v104, v[107:108], v[111:112] offset1:1
	ds_write_b64 v104, v[113:114] offset:96
	s_and_saveexec_b32 s1, s0
	s_cbranch_execz .LBB0_15
; %bb.14:
	v_add_f64 v[105:106], v[72:73], v[0:1]
	v_add_f64 v[117:118], v[74:75], -v[6:7]
	v_add_f64 v[113:114], v[26:27], -v[18:19]
	;; [unrolled: 1-line block ×3, first 2 shown]
	v_add_f64 v[129:130], v[4:5], v[72:73]
	v_add_f64 v[125:126], v[16:17], v[24:25]
	;; [unrolled: 1-line block ×3, first 2 shown]
	v_add_f64 v[111:112], v[34:35], -v[22:23]
	v_add_f64 v[109:110], v[14:15], -v[38:39]
	v_add_f64 v[123:124], v[20:21], v[32:33]
	v_add_f64 v[107:108], v[42:43], -v[30:31]
	v_add_f64 v[121:122], v[36:37], v[12:13]
	v_add_f64 v[119:120], v[28:29], v[40:41]
	v_add_nc_u32_e32 v45, 0x1a68, v104
	v_add_f64 v[105:106], v[56:57], v[105:106]
	v_mul_f64 v[141:142], v[117:118], s[42:43]
	v_mul_f64 v[153:154], v[117:118], s[36:37]
	;; [unrolled: 1-line block ×21, first 2 shown]
	v_add_f64 v[105:106], v[24:25], v[105:106]
	v_fma_f64 v[205:206], v[129:130], s[20:21], v[141:142]
	v_fma_f64 v[141:142], v[129:130], s[20:21], -v[141:142]
	v_fma_f64 v[215:216], v[129:130], s[16:17], v[153:154]
	v_fma_f64 v[153:154], v[129:130], s[16:17], -v[153:154]
	v_fma_f64 v[217:218], v[129:130], s[14:15], v[165:166]
	v_fma_f64 v[219:220], v[129:130], s[10:11], -v[181:182]
	v_fma_f64 v[221:222], v[129:130], s[6:7], -v[193:194]
	v_fma_f64 v[165:166], v[129:130], s[14:15], -v[165:166]
	v_fma_f64 v[181:182], v[129:130], s[10:11], v[181:182]
	v_fma_f64 v[193:194], v[129:130], s[6:7], v[193:194]
	v_fma_f64 v[223:224], v[129:130], s[4:5], -v[117:118]
	v_fma_f64 v[117:118], v[129:130], s[4:5], v[117:118]
	v_fma_f64 v[203:204], v[127:128], s[4:5], v[139:140]
	;; [unrolled: 3-line block ×3, first 2 shown]
	v_fma_f64 v[129:130], v[127:128], s[10:11], -v[151:152]
	v_fma_f64 v[151:152], v[127:128], s[16:17], v[163:164]
	v_fma_f64 v[163:164], v[127:128], s[16:17], -v[163:164]
	v_fma_f64 v[225:226], v[127:128], s[20:21], v[179:180]
	v_fma_f64 v[179:180], v[127:128], s[20:21], -v[179:180]
	v_add_f64 v[105:106], v[32:33], v[105:106]
	v_fma_f64 v[227:228], v[127:128], s[14:15], v[191:192]
	v_fma_f64 v[191:192], v[127:128], s[14:15], -v[191:192]
	v_fma_f64 v[229:230], v[127:128], s[6:7], v[115:116]
	v_fma_f64 v[115:116], v[127:128], s[6:7], -v[115:116]
	v_fma_f64 v[127:128], v[125:126], s[6:7], -v[149:150]
	v_add_f64 v[149:150], v[0:1], v[205:206]
	v_add_f64 v[141:142], v[0:1], v[141:142]
	;; [unrolled: 1-line block ×12, first 2 shown]
	v_mul_f64 v[174:175], v[111:112], s[18:19]
	v_mul_f64 v[187:188], v[111:112], s[38:39]
	;; [unrolled: 1-line block ×3, first 2 shown]
	v_fma_f64 v[201:202], v[125:126], s[16:17], v[137:138]
	v_add_f64 v[105:106], v[12:13], v[105:106]
	v_fma_f64 v[137:138], v[125:126], s[16:17], -v[137:138]
	v_fma_f64 v[117:118], v[125:126], s[4:5], v[161:162]
	v_fma_f64 v[223:224], v[125:126], s[14:15], v[177:178]
	v_fma_f64 v[177:178], v[125:126], s[14:15], -v[177:178]
	v_fma_f64 v[231:232], v[125:126], s[20:21], v[189:190]
	v_fma_f64 v[189:190], v[125:126], s[20:21], -v[189:190]
	v_add_f64 v[149:150], v[203:204], v[149:150]
	v_add_f64 v[139:140], v[139:140], v[141:142]
	;; [unrolled: 1-line block ×7, first 2 shown]
	v_fma_f64 v[161:162], v[125:126], s[4:5], -v[161:162]
	v_add_f64 v[163:164], v[163:164], v[165:166]
	v_add_f64 v[165:166], v[225:226], v[181:182]
	;; [unrolled: 1-line block ×3, first 2 shown]
	v_fma_f64 v[233:234], v[125:126], s[10:11], v[113:114]
	v_fma_f64 v[113:114], v[125:126], s[10:11], -v[113:114]
	v_add_f64 v[115:116], v[115:116], v[221:222]
	v_add_f64 v[0:1], v[229:230], v[0:1]
	;; [unrolled: 1-line block ×3, first 2 shown]
	v_mul_f64 v[133:134], v[109:110], s[30:31]
	v_mul_f64 v[145:146], v[109:110], s[18:19]
	;; [unrolled: 1-line block ×6, first 2 shown]
	v_fma_f64 v[199:200], v[123:124], s[6:7], v[135:136]
	v_fma_f64 v[135:136], v[123:124], s[6:7], -v[135:136]
	v_fma_f64 v[125:126], v[123:124], s[20:21], v[147:148]
	v_fma_f64 v[147:148], v[123:124], s[20:21], -v[147:148]
	;; [unrolled: 2-line block ×6, first 2 shown]
	v_add_f64 v[123:124], v[201:202], v[149:150]
	v_add_f64 v[137:138], v[137:138], v[139:140]
	;; [unrolled: 1-line block ×13, first 2 shown]
	v_mul_f64 v[131:132], v[107:108], s[26:27]
	v_mul_f64 v[143:144], v[107:108], s[30:31]
	;; [unrolled: 1-line block ×6, first 2 shown]
	v_fma_f64 v[197:198], v[121:122], s[14:15], v[133:134]
	v_fma_f64 v[133:134], v[121:122], s[14:15], -v[133:134]
	v_fma_f64 v[209:210], v[121:122], s[4:5], v[145:146]
	v_fma_f64 v[115:116], v[121:122], s[4:5], -v[145:146]
	;; [unrolled: 2-line block ×3, first 2 shown]
	v_add_f64 v[105:106], v[36:37], v[105:106]
	v_fma_f64 v[161:162], v[121:122], s[6:7], v[172:173]
	v_fma_f64 v[163:164], v[121:122], s[6:7], -v[172:173]
	v_fma_f64 v[165:166], v[121:122], s[10:11], v[185:186]
	v_fma_f64 v[172:173], v[121:122], s[10:11], -v[185:186]
	v_fma_f64 v[177:178], v[121:122], s[16:17], v[109:110]
	v_fma_f64 v[109:110], v[121:122], s[16:17], -v[109:110]
	v_add_f64 v[121:122], v[199:200], v[123:124]
	v_add_f64 v[123:124], v[135:136], v[137:138]
	;; [unrolled: 1-line block ×12, first 2 shown]
	v_fma_f64 v[195:196], v[119:120], s[10:11], v[131:132]
	v_fma_f64 v[131:132], v[119:120], s[10:11], -v[131:132]
	v_fma_f64 v[207:208], v[119:120], s[14:15], v[143:144]
	v_add_f64 v[105:106], v[20:21], v[105:106]
	v_fma_f64 v[113:114], v[119:120], s[14:15], -v[143:144]
	v_fma_f64 v[143:144], v[119:120], s[6:7], v[155:156]
	v_fma_f64 v[147:148], v[119:120], s[6:7], -v[155:156]
	v_fma_f64 v[149:150], v[119:120], s[16:17], v[170:171]
	;; [unrolled: 2-line block ×4, first 2 shown]
	v_fma_f64 v[107:108], v[119:120], s[20:21], -v[107:108]
	v_add_f64 v[119:120], v[197:198], v[121:122]
	v_add_f64 v[121:122], v[133:134], v[123:124]
	;; [unrolled: 1-line block ×26, first 2 shown]
	v_add_nc_u32_e32 v109, 0x1a78, v104
	v_add_nc_u32_e32 v110, 0x1a88, v104
	;; [unrolled: 1-line block ×5, first 2 shown]
	v_add_f64 v[105:106], v[4:5], v[105:106]
	ds_write2_b64 v109, v[123:124], v[117:118] offset1:1
	ds_write2_b64 v110, v[125:126], v[113:114] offset1:1
	;; [unrolled: 1-line block ×6, first 2 shown]
	ds_write_b64 v104, v[0:1] offset:6856
.LBB0_15:
	s_or_b32 exec_lo, exec_lo, s1
	v_add_f64 v[0:1], v[102:103], v[46:47]
	v_add_f64 v[48:49], v[100:101], -v[48:49]
	v_add_f64 v[102:103], v[50:51], v[102:103]
	v_add_f64 v[52:53], v[92:93], -v[52:53]
	;; [unrolled: 2-line block ×3, first 2 shown]
	v_add_f64 v[64:65], v[64:65], -v[88:89]
	v_add_f64 v[84:85], v[96:97], -v[84:85]
	v_add_f64 v[100:101], v[54:55], v[94:95]
	v_lshlrev_b32_e32 v194, 3, v44
	v_add_f64 v[44:45], v[90:91], v[66:67]
	v_add_f64 v[68:69], v[80:81], -v[68:69]
	v_add_f64 v[80:81], v[86:87], v[98:99]
	v_add_f64 v[76:77], v[70:71], v[82:83]
	v_lshlrev_b32_e32 v92, 3, v176
	s_waitcnt lgkmcnt(0)
	s_barrier
	buffer_gl0_inv
	v_add3_u32 v180, 0, v92, v194
	v_add3_u32 v179, 0, v194, v92
	v_add_f64 v[0:1], v[94:95], v[0:1]
	v_mul_f64 v[88:89], v[48:49], s[24:25]
	v_mul_f64 v[96:97], v[48:49], s[34:35]
	;; [unrolled: 1-line block ×21, first 2 shown]
	v_add_f64 v[0:1], v[78:79], v[0:1]
	v_mul_f64 v[78:79], v[48:49], s[28:29]
	v_mul_f64 v[48:49], v[48:49], s[42:43]
	v_fma_f64 v[161:162], v[102:103], s[6:7], v[88:89]
	v_fma_f64 v[88:89], v[102:103], s[6:7], -v[88:89]
	v_fma_f64 v[163:164], v[102:103], s[10:11], v[96:97]
	v_fma_f64 v[165:166], v[102:103], s[16:17], v[109:110]
	v_fma_f64 v[109:110], v[102:103], s[16:17], -v[109:110]
	v_fma_f64 v[174:175], v[100:101], s[14:15], v[113:114]
	v_fma_f64 v[113:114], v[100:101], s[14:15], -v[113:114]
	;; [unrolled: 2-line block ×8, first 2 shown]
	v_add_f64 v[0:1], v[82:83], v[0:1]
	v_fma_f64 v[159:160], v[102:103], s[4:5], v[78:79]
	v_fma_f64 v[78:79], v[102:103], s[4:5], -v[78:79]
	v_fma_f64 v[170:171], v[102:103], s[20:21], v[48:49]
	v_fma_f64 v[48:49], v[102:103], s[20:21], -v[48:49]
	;; [unrolled: 2-line block ×4, first 2 shown]
	v_add_f64 v[88:89], v[46:47], v[88:89]
	v_add_f64 v[109:110], v[46:47], v[109:110]
	v_mul_f64 v[82:83], v[68:69], s[18:19]
	v_mul_f64 v[68:69], v[68:69], s[22:23]
	;; [unrolled: 1-line block ×7, first 2 shown]
	v_fma_f64 v[207:208], v[76:77], s[10:11], v[135:136]
	v_fma_f64 v[209:210], v[76:77], s[20:21], v[137:138]
	v_fma_f64 v[135:136], v[76:77], s[10:11], -v[135:136]
	v_mul_f64 v[151:152], v[84:85], s[18:19]
	v_add_f64 v[0:1], v[66:67], v[0:1]
	v_fma_f64 v[66:67], v[102:103], s[10:11], -v[96:97]
	v_fma_f64 v[96:97], v[102:103], s[14:15], v[107:108]
	v_fma_f64 v[107:108], v[102:103], s[14:15], -v[107:108]
	v_fma_f64 v[102:103], v[100:101], s[6:7], v[111:112]
	;; [unrolled: 2-line block ×3, first 2 shown]
	v_fma_f64 v[121:122], v[105:106], s[10:11], -v[121:122]
	v_add_f64 v[48:49], v[46:47], v[48:49]
	v_add_f64 v[88:89], v[113:114], v[88:89]
	v_mul_f64 v[153:154], v[84:85], s[36:37]
	v_mul_f64 v[149:150], v[84:85], s[42:43]
	v_mul_f64 v[155:156], v[84:85], s[22:23]
	v_mul_f64 v[157:158], v[84:85], s[30:31]
	v_mul_f64 v[84:85], v[84:85], s[26:27]
	v_add_nc_u32_e32 v183, 0x800, v180
	v_add_nc_u32_e32 v184, 0x1000, v180
	;; [unrolled: 1-line block ×5, first 2 shown]
	ds_read_b64 v[172:173], v179
	ds_read2_b64 v[92:95], v180 offset0:65 offset1:130
	v_add_f64 v[0:1], v[98:99], v[0:1]
	v_fma_f64 v[98:99], v[105:106], s[20:21], v[123:124]
	v_fma_f64 v[123:124], v[105:106], s[20:21], -v[123:124]
	v_add_f64 v[105:106], v[46:47], v[159:160]
	v_add_f64 v[159:160], v[46:47], v[161:162]
	;; [unrolled: 1-line block ×11, first 2 shown]
	v_fma_f64 v[78:79], v[76:77], s[14:15], v[131:132]
	v_fma_f64 v[170:171], v[76:77], s[4:5], v[82:83]
	v_fma_f64 v[82:83], v[76:77], s[4:5], -v[82:83]
	v_fma_f64 v[109:110], v[76:77], s[6:7], v[68:69]
	v_fma_f64 v[68:69], v[76:77], s[6:7], -v[68:69]
	v_fma_f64 v[119:120], v[44:45], s[10:11], -v[141:142]
	v_add_nc_u32_e32 v188, 0x2800, v180
	v_add_nc_u32_e32 v189, 0xc00, v180
	v_add_f64 v[0:1], v[86:87], v[0:1]
	v_fma_f64 v[86:87], v[76:77], s[14:15], -v[131:132]
	v_fma_f64 v[131:132], v[76:77], s[16:17], v[133:134]
	v_add_f64 v[102:103], v[102:103], v[105:106]
	v_add_f64 v[105:106], v[174:175], v[159:160]
	;; [unrolled: 1-line block ×9, first 2 shown]
	v_fma_f64 v[133:134], v[76:77], s[16:17], -v[133:134]
	v_add_f64 v[88:89], v[123:124], v[88:89]
	v_add_f64 v[48:49], v[60:61], v[48:49]
	;; [unrolled: 1-line block ×3, first 2 shown]
	v_fma_f64 v[111:112], v[44:45], s[16:17], -v[139:140]
	v_fma_f64 v[115:116], v[44:45], s[10:11], v[141:142]
	v_fma_f64 v[123:124], v[44:45], s[14:15], v[64:65]
	;; [unrolled: 1-line block ×4, first 2 shown]
	v_fma_f64 v[84:85], v[80:81], s[10:11], -v[84:85]
	v_add_f64 v[0:1], v[90:91], v[0:1]
	v_fma_f64 v[90:91], v[76:77], s[20:21], -v[137:138]
	v_fma_f64 v[76:77], v[44:45], s[16:17], v[139:140]
	v_add_f64 v[100:101], v[100:101], v[102:103]
	v_add_f64 v[98:99], v[98:99], v[105:106]
	;; [unrolled: 1-line block ×9, first 2 shown]
	v_fma_f64 v[137:138], v[44:45], s[6:7], v[143:144]
	v_fma_f64 v[139:140], v[44:45], s[6:7], -v[143:144]
	v_fma_f64 v[66:67], v[44:45], s[20:21], v[145:146]
	v_fma_f64 v[117:118], v[44:45], s[4:5], v[147:148]
	v_fma_f64 v[121:122], v[44:45], s[4:5], -v[147:148]
	v_add_f64 v[88:89], v[133:134], v[88:89]
	v_add_f64 v[48:49], v[68:69], v[48:49]
	v_fma_f64 v[127:128], v[80:81], s[20:21], -v[149:150]
	v_fma_f64 v[133:134], v[80:81], s[14:15], v[157:158]
	v_fma_f64 v[125:126], v[80:81], s[20:21], v[149:150]
	v_add_f64 v[0:1], v[70:71], v[0:1]
	v_fma_f64 v[70:71], v[44:45], s[20:21], -v[145:146]
	v_fma_f64 v[44:45], v[44:45], s[14:15], -v[64:65]
	v_add_f64 v[64:65], v[78:79], v[100:101]
	v_add_f64 v[78:79], v[131:132], v[98:99]
	;; [unrolled: 1-line block ×10, first 2 shown]
	v_fma_f64 v[107:108], v[80:81], s[16:17], v[153:154]
	v_fma_f64 v[86:87], v[80:81], s[4:5], -v[151:152]
	v_fma_f64 v[109:110], v[80:81], s[16:17], -v[153:154]
	v_fma_f64 v[113:114], v[80:81], s[6:7], v[155:156]
	v_fma_f64 v[135:136], v[80:81], s[14:15], -v[157:158]
	v_add_f64 v[119:120], v[119:120], v[88:89]
	v_fma_f64 v[131:132], v[80:81], s[6:7], -v[155:156]
	v_add_nc_u32_e32 v190, 0x2000, v180
	v_add_nc_u32_e32 v191, 0x400, v180
	v_add_f64 v[0:1], v[62:63], v[0:1]
	v_add_nc_u32_e32 v192, 0x1800, v180
	v_add_f64 v[44:45], v[44:45], v[48:49]
	v_add_f64 v[143:144], v[76:77], v[64:65]
	;; [unrolled: 1-line block ×11, first 2 shown]
	v_add_nc_u32_e32 v193, 0x2c00, v180
	v_add_nc_u32_e32 v177, 0x41, v176
	v_add_f64 v[119:120], v[86:87], v[119:120]
	v_add_f64 v[0:1], v[54:55], v[0:1]
	ds_read2_b64 v[96:99], v183 offset0:69 offset1:134
	ds_read2_b64 v[80:83], v184 offset0:73 offset1:138
	;; [unrolled: 1-line block ×8, first 2 shown]
	v_add_f64 v[121:122], v[84:85], v[44:45]
	v_add_f64 v[111:112], v[125:126], v[143:144]
	;; [unrolled: 1-line block ×12, first 2 shown]
	ds_read2_b64 v[44:47], v191 offset0:67 offset1:132
	ds_read2_b64 v[84:87], v192 offset0:77 offset1:142
	;; [unrolled: 1-line block ×3, first 2 shown]
	s_waitcnt lgkmcnt(0)
	s_barrier
	buffer_gl0_inv
	ds_write2_b64 v104, v[115:116], v[107:108] offset0:2 offset1:3
	ds_write2_b64 v104, v[113:114], v[102:103] offset0:4 offset1:5
	ds_write2_b64 v104, v[105:106], v[121:122] offset0:6 offset1:7
	ds_write2_b64 v104, v[123:124], v[100:101] offset0:8 offset1:9
	ds_write2_b64 v104, v[109:110], v[119:120] offset0:10 offset1:11
	ds_write2_b64 v104, v[0:1], v[111:112] offset1:1
	ds_write_b64 v104, v[117:118] offset:96
	s_and_saveexec_b32 s33, s0
	s_cbranch_execz .LBB0_17
; %bb.16:
	v_add_f64 v[0:1], v[74:75], v[2:3]
	v_add_f64 v[4:5], v[72:73], -v[4:5]
	s_mov_b32 s22, 0x42a4c3d2
	s_mov_b32 s24, 0x66966769
	;; [unrolled: 1-line block ×11, first 2 shown]
	v_add_f64 v[74:75], v[6:7], v[74:75]
	s_mov_b32 s31, 0xbfcea1e5
	v_add_f64 v[8:9], v[56:57], -v[8:9]
	v_add_f64 v[56:57], v[18:19], v[26:27]
	v_add_f64 v[28:29], v[40:41], -v[28:29]
	s_mov_b32 s0, 0xe00740e9
	s_mov_b32 s4, 0xebaa3ed8
	;; [unrolled: 1-line block ×4, first 2 shown]
	v_add_f64 v[0:1], v[58:59], v[0:1]
	v_mul_f64 v[40:41], v[4:5], s[22:23]
	v_mul_f64 v[72:73], v[4:5], s[24:25]
	;; [unrolled: 1-line block ×4, first 2 shown]
	s_mov_b32 s10, 0xb2365da1
	s_mov_b32 s14, 0xd0032e0c
	;; [unrolled: 1-line block ×10, first 2 shown]
	v_add_f64 v[58:59], v[10:11], v[58:59]
	v_add_f64 v[16:17], v[24:25], -v[16:17]
	v_add_f64 v[20:21], v[32:33], -v[20:21]
	v_add_f64 v[32:33], v[38:39], v[14:15]
	v_mul_f64 v[104:105], v[8:9], s[22:23]
	v_mul_f64 v[106:107], v[8:9], s[20:21]
	;; [unrolled: 1-line block ×3, first 2 shown]
	v_add_f64 v[0:1], v[26:27], v[0:1]
	v_mul_f64 v[26:27], v[4:5], s[18:19]
	v_mul_f64 v[4:5], v[4:5], s[30:31]
	s_mov_b32 s19, 0x3fddbe06
	v_mul_f64 v[110:111], v[8:9], s[34:35]
	v_mul_f64 v[112:113], v[8:9], s[28:29]
	;; [unrolled: 1-line block ×3, first 2 shown]
	v_fma_f64 v[154:155], v[74:75], s[4:5], v[72:73]
	v_fma_f64 v[72:73], v[74:75], s[4:5], -v[72:73]
	v_fma_f64 v[156:157], v[74:75], s[10:11], v[100:101]
	v_fma_f64 v[100:101], v[74:75], s[10:11], -v[100:101]
	;; [unrolled: 2-line block ×3, first 2 shown]
	s_mov_b32 s37, 0x3fedeba7
	s_mov_b32 s36, s20
	;; [unrolled: 1-line block ×3, first 2 shown]
	v_mul_f64 v[114:115], v[16:17], s[24:25]
	v_mul_f64 v[116:117], v[16:17], s[30:31]
	;; [unrolled: 1-line block ×6, first 2 shown]
	v_add_f64 v[0:1], v[34:35], v[0:1]
	v_fma_f64 v[152:153], v[74:75], s[0:1], v[26:27]
	v_fma_f64 v[160:161], v[74:75], s[16:17], v[4:5]
	v_fma_f64 v[4:5], v[74:75], s[16:17], -v[4:5]
	v_fma_f64 v[162:163], v[58:59], s[10:11], v[106:107]
	v_fma_f64 v[106:107], v[58:59], s[10:11], -v[106:107]
	;; [unrolled: 2-line block ×6, first 2 shown]
	v_add_f64 v[72:73], v[2:3], v[72:73]
	v_add_f64 v[100:101], v[2:3], v[100:101]
	;; [unrolled: 1-line block ×3, first 2 shown]
	s_mov_b32 s39, 0x3fea55e2
	s_mov_b32 s40, s30
	s_mov_b32 s38, s22
	v_add_f64 v[24:25], v[22:23], v[34:35]
	v_add_f64 v[12:13], v[12:13], -v[36:37]
	v_add_f64 v[0:1], v[14:15], v[0:1]
	v_fma_f64 v[14:15], v[74:75], s[0:1], -v[26:27]
	v_fma_f64 v[26:27], v[74:75], s[6:7], v[40:41]
	v_fma_f64 v[40:41], v[74:75], s[6:7], -v[40:41]
	v_fma_f64 v[74:75], v[58:59], s[6:7], v[104:105]
	v_fma_f64 v[104:105], v[58:59], s[6:7], -v[104:105]
	v_add_f64 v[58:59], v[2:3], v[152:153]
	v_add_f64 v[152:153], v[2:3], v[154:155]
	;; [unrolled: 1-line block ×7, first 2 shown]
	v_mul_f64 v[34:35], v[20:21], s[20:21]
	v_mul_f64 v[124:125], v[20:21], s[34:35]
	;; [unrolled: 1-line block ×6, first 2 shown]
	v_fma_f64 v[174:175], v[56:57], s[16:17], v[116:117]
	v_fma_f64 v[116:117], v[56:57], s[16:17], -v[116:117]
	v_fma_f64 v[181:182], v[56:57], s[10:11], v[118:119]
	v_add_f64 v[0:1], v[42:43], v[0:1]
	v_fma_f64 v[42:43], v[56:57], s[4:5], v[114:115]
	v_add_f64 v[26:27], v[2:3], v[26:27]
	v_add_f64 v[40:41], v[2:3], v[40:41]
	;; [unrolled: 1-line block ×3, first 2 shown]
	v_fma_f64 v[114:115], v[56:57], s[4:5], -v[114:115]
	v_fma_f64 v[118:119], v[56:57], s[10:11], -v[118:119]
	v_fma_f64 v[195:196], v[56:57], s[6:7], v[120:121]
	v_fma_f64 v[120:121], v[56:57], s[6:7], -v[120:121]
	v_fma_f64 v[201:202], v[56:57], s[0:1], v[16:17]
	v_fma_f64 v[16:17], v[56:57], s[0:1], -v[16:17]
	v_add_f64 v[72:73], v[108:109], v[72:73]
	v_add_f64 v[100:101], v[110:111], v[100:101]
	;; [unrolled: 1-line block ×5, first 2 shown]
	v_mul_f64 v[132:133], v[12:13], s[26:27]
	v_mul_f64 v[134:135], v[12:13], s[28:29]
	;; [unrolled: 1-line block ×3, first 2 shown]
	v_fma_f64 v[160:161], v[24:25], s[10:11], v[34:35]
	v_fma_f64 v[34:35], v[24:25], s[10:11], -v[34:35]
	v_fma_f64 v[14:15], v[24:25], s[14:15], v[124:125]
	v_add_f64 v[0:1], v[30:31], v[0:1]
	v_fma_f64 v[30:31], v[56:57], s[14:15], v[122:123]
	v_fma_f64 v[122:123], v[56:57], s[14:15], -v[122:123]
	v_add_f64 v[56:57], v[74:75], v[58:59]
	v_add_f64 v[26:27], v[162:163], v[26:27]
	v_add_f64 v[40:41], v[106:107], v[40:41]
	v_add_f64 v[58:59], v[164:165], v[152:153]
	v_add_f64 v[74:75], v[166:167], v[154:155]
	v_add_f64 v[106:107], v[170:171], v[156:157]
	v_add_f64 v[2:3], v[104:105], v[2:3]
	v_fma_f64 v[124:125], v[24:25], s[14:15], -v[124:125]
	v_fma_f64 v[199:200], v[24:25], s[4:5], v[126:127]
	v_fma_f64 v[8:9], v[24:25], s[4:5], -v[126:127]
	v_fma_f64 v[110:111], v[24:25], s[16:17], -v[128:129]
	v_fma_f64 v[112:113], v[24:25], s[6:7], v[130:131]
	v_fma_f64 v[104:105], v[24:25], s[6:7], -v[130:131]
	v_fma_f64 v[130:131], v[24:25], s[0:1], v[20:21]
	v_fma_f64 v[20:21], v[24:25], s[0:1], -v[20:21]
	v_mul_f64 v[138:139], v[12:13], s[40:41]
	v_mul_f64 v[140:141], v[12:13], s[20:21]
	v_mul_f64 v[12:13], v[12:13], s[18:19]
	v_add_f64 v[16:17], v[16:17], v[100:101]
	v_add_f64 v[0:1], v[38:39], v[0:1]
	v_fma_f64 v[38:39], v[24:25], s[16:17], v[128:129]
	v_add_f64 v[30:31], v[30:31], v[108:109]
	v_add_f64 v[24:25], v[42:43], v[56:57]
	;; [unrolled: 1-line block ×11, first 2 shown]
	v_mul_f64 v[142:143], v[28:29], s[30:31]
	v_mul_f64 v[144:145], v[28:29], s[26:27]
	;; [unrolled: 1-line block ×6, first 2 shown]
	v_fma_f64 v[126:127], v[32:33], s[14:15], v[132:133]
	v_fma_f64 v[128:129], v[32:33], s[4:5], v[134:135]
	;; [unrolled: 1-line block ×3, first 2 shown]
	v_add_f64 v[0:1], v[22:23], v[0:1]
	v_fma_f64 v[22:23], v[32:33], s[4:5], -v[134:135]
	v_fma_f64 v[106:107], v[32:33], s[16:17], v[138:139]
	v_add_f64 v[24:25], v[160:161], v[24:25]
	v_add_f64 v[14:15], v[14:15], v[26:27]
	;; [unrolled: 1-line block ×4, first 2 shown]
	v_fma_f64 v[118:119], v[32:33], s[0:1], v[12:13]
	v_add_f64 v[42:43], v[199:200], v[58:59]
	v_add_f64 v[8:9], v[8:9], v[16:17]
	;; [unrolled: 1-line block ×3, first 2 shown]
	v_fma_f64 v[114:115], v[32:33], s[10:11], v[140:141]
	v_fma_f64 v[116:117], v[32:33], s[10:11], -v[140:141]
	v_add_f64 v[30:31], v[112:113], v[30:31]
	v_add_f64 v[4:5], v[104:105], v[4:5]
	v_fma_f64 v[108:109], v[32:33], s[16:17], -v[138:139]
	v_fma_f64 v[12:13], v[32:33], s[0:1], -v[12:13]
	v_add_f64 v[38:39], v[110:111], v[74:75]
	v_fma_f64 v[102:103], v[32:33], s[6:7], -v[136:137]
	v_add_f64 v[20:21], v[20:21], v[56:57]
	v_add_f64 v[2:3], v[34:35], v[2:3]
	v_fma_f64 v[56:57], v[36:37], s[14:15], v[144:145]
	v_add_f64 v[0:1], v[18:19], v[0:1]
	v_fma_f64 v[18:19], v[32:33], s[14:15], -v[132:133]
	v_fma_f64 v[32:33], v[36:37], s[16:17], v[142:143]
	v_fma_f64 v[104:105], v[36:37], s[0:1], v[28:29]
	v_add_f64 v[24:25], v[126:127], v[24:25]
	v_add_f64 v[14:15], v[128:129], v[14:15]
	;; [unrolled: 1-line block ×4, first 2 shown]
	v_fma_f64 v[58:59], v[36:37], s[6:7], v[146:147]
	v_fma_f64 v[72:73], v[36:37], s[10:11], v[148:149]
	v_add_f64 v[40:41], v[106:107], v[42:43]
	v_add_f64 v[16:17], v[118:119], v[16:17]
	v_fma_f64 v[74:75], v[36:37], s[4:5], v[150:151]
	v_fma_f64 v[28:29], v[36:37], s[0:1], -v[28:29]
	v_add_f64 v[30:31], v[114:115], v[30:31]
	v_add_f64 v[4:5], v[116:117], v[4:5]
	v_fma_f64 v[34:35], v[36:37], s[6:7], -v[146:147]
	v_add_f64 v[8:9], v[108:109], v[8:9]
	v_add_f64 v[12:13], v[12:13], v[38:39]
	v_fma_f64 v[38:39], v[36:37], s[10:11], -v[148:149]
	v_add_f64 v[20:21], v[102:103], v[20:21]
	v_fma_f64 v[42:43], v[36:37], s[14:15], -v[144:145]
	;; [unrolled: 2-line block ×3, first 2 shown]
	v_fma_f64 v[36:37], v[36:37], s[16:17], -v[142:143]
	v_add_f64 v[2:3], v[18:19], v[2:3]
	v_add_f64 v[18:19], v[32:33], v[24:25]
	;; [unrolled: 1-line block ×14, first 2 shown]
	v_mul_u32_u24_e32 v6, 0x68, v177
	v_add3_u32 v6, 0, v6, v194
	ds_write2_b64 v6, v[14:15], v[24:25] offset0:2 offset1:3
	ds_write2_b64 v6, v[26:27], v[16:17] offset0:4 offset1:5
	;; [unrolled: 1-line block ×5, first 2 shown]
	ds_write2_b64 v6, v[0:1], v[18:19] offset1:1
	ds_write_b64 v6, v[2:3] offset:96
.LBB0_17:
	s_or_b32 exec_lo, exec_lo, s33
	v_and_b32_e32 v0, 0xff, v176
	v_and_b32_e32 v1, 0xff, v177
	v_add_nc_u32_e32 v181, 0xc3, v176
	v_add_nc_u32_e32 v178, 0x104, v176
	;; [unrolled: 1-line block ×3, first 2 shown]
	v_mul_lo_u16 v0, 0x4f, v0
	v_mul_lo_u16 v1, 0x4f, v1
	v_mov_b32_e32 v195, 6
	s_waitcnt lgkmcnt(0)
	v_and_b32_e32 v197, 0xff, v182
	v_lshrrev_b16 v198, 10, v0
	v_lshrrev_b16 v199, 10, v1
	v_mov_b32_e32 v1, 0x4ec5
	s_barrier
	buffer_gl0_inv
	v_mul_lo_u16 v0, v198, 13
	v_mul_lo_u16 v2, v199, 13
	v_mov_b32_e32 v196, 3
	v_and_b32_e32 v198, 0xffff, v198
	v_and_b32_e32 v199, 0xffff, v199
	v_sub_nc_u16 v200, v176, v0
	v_mul_u32_u24_sdwa v0, v181, v1 dst_sel:DWORD dst_unused:UNUSED_PAD src0_sel:WORD_0 src1_sel:DWORD
	v_sub_nc_u16 v201, v177, v2
	v_mad_u32_u24 v198, 0x208, v198, 0
	v_mad_u32_u24 v199, 0x208, v199, 0
	v_lshlrev_b32_sdwa v2, v195, v200 dst_sel:DWORD dst_unused:UNUSED_PAD src0_sel:DWORD src1_sel:BYTE_0
	v_lshrrev_b32_e32 v210, 18, v0
	v_mul_u32_u24_sdwa v0, v178, v1 dst_sel:DWORD dst_unused:UNUSED_PAD src0_sel:WORD_0 src1_sel:DWORD
	v_lshlrev_b32_sdwa v1, v195, v201 dst_sel:DWORD dst_unused:UNUSED_PAD src0_sel:DWORD src1_sel:BYTE_0
	v_lshlrev_b32_sdwa v200, v196, v200 dst_sel:DWORD dst_unused:UNUSED_PAD src0_sel:DWORD src1_sel:BYTE_0
	global_load_dwordx4 v[56:59], v2, s[8:9]
	v_mul_lo_u16 v3, v210, 13
	v_lshrrev_b32_e32 v211, 18, v0
	v_mul_lo_u16 v0, 0x4f, v197
	s_clause 0x3
	global_load_dwordx4 v[8:11], v2, s[8:9] offset:16
	global_load_dwordx4 v[72:75], v1, s[8:9]
	global_load_dwordx4 v[40:43], v2, s[8:9] offset:32
	global_load_dwordx4 v[12:15], v1, s[8:9] offset:16
	v_sub_nc_u16 v212, v181, v3
	s_clause 0x2
	global_load_dwordx4 v[16:19], v2, s[8:9] offset:48
	global_load_dwordx4 v[104:107], v1, s[8:9] offset:32
	;; [unrolled: 1-line block ×3, first 2 shown]
	v_lshrrev_b16 v213, 10, v0
	v_mul_lo_u16 v2, v211, 13
	v_lshlrev_b32_sdwa v3, v195, v212 dst_sel:DWORD dst_unused:UNUSED_PAD src0_sel:DWORD src1_sel:WORD_0
	v_mad_u32_u24 v210, 0x208, v210, 0
	v_mad_u32_u24 v211, 0x208, v211, 0
	v_mul_lo_u16 v1, v213, 13
	v_sub_nc_u16 v214, v178, v2
	s_clause 0x2
	global_load_dwordx4 v[32:35], v3, s[8:9]
	global_load_dwordx4 v[28:31], v3, s[8:9] offset:16
	global_load_dwordx4 v[24:27], v3, s[8:9] offset:32
	v_and_b32_e32 v213, 0xffff, v213
	v_sub_nc_u16 v215, v182, v1
	v_lshlrev_b32_sdwa v0, v195, v214 dst_sel:DWORD dst_unused:UNUSED_PAD src0_sel:DWORD src1_sel:WORD_0
	s_clause 0x1
	global_load_dwordx4 v[36:39], v3, s[8:9] offset:48
	global_load_dwordx4 v[132:135], v0, s[8:9]
	v_lshlrev_b32_sdwa v1, v195, v215 dst_sel:DWORD dst_unused:UNUSED_PAD src0_sel:DWORD src1_sel:BYTE_0
	s_clause 0x6
	global_load_dwordx4 v[128:131], v0, s[8:9] offset:16
	global_load_dwordx4 v[124:127], v0, s[8:9] offset:32
	;; [unrolled: 1-line block ×3, first 2 shown]
	global_load_dwordx4 v[116:119], v1, s[8:9]
	global_load_dwordx4 v[112:115], v1, s[8:9] offset:16
	global_load_dwordx4 v[108:111], v1, s[8:9] offset:32
	;; [unrolled: 1-line block ×3, first 2 shown]
	ds_read_b64 v[174:175], v179
	ds_read2_b64 v[202:205], v183 offset0:69 offset1:134
	ds_read2_b64 v[156:159], v184 offset0:73 offset1:138
	;; [unrolled: 1-line block ×12, first 2 shown]
	v_lshlrev_b32_sdwa v201, v196, v201 dst_sel:DWORD dst_unused:UNUSED_PAD src0_sel:DWORD src1_sel:BYTE_0
	v_mad_u32_u24 v213, 0x208, v213, 0
	v_lshlrev_b32_sdwa v212, v196, v212 dst_sel:DWORD dst_unused:UNUSED_PAD src0_sel:DWORD src1_sel:WORD_0
	v_lshlrev_b32_sdwa v214, v196, v214 dst_sel:DWORD dst_unused:UNUSED_PAD src0_sel:DWORD src1_sel:WORD_0
	v_add3_u32 v248, v198, v200, v194
	v_lshlrev_b32_sdwa v200, v196, v215 dst_sel:DWORD dst_unused:UNUSED_PAD src0_sel:DWORD src1_sel:BYTE_0
	v_add3_u32 v249, v199, v201, v194
	v_add3_u32 v250, v210, v212, v194
	v_add3_u32 v251, v211, v214, v194
	s_mov_b32 s14, 0x134454ff
	v_add3_u32 v252, v213, v200, v194
	s_mov_b32 s15, 0x3fee6f0e
	s_mov_b32 s17, 0xbfee6f0e
	;; [unrolled: 1-line block ×9, first 2 shown]
	s_waitcnt vmcnt(0) lgkmcnt(0)
	s_barrier
	buffer_gl0_inv
	v_lshlrev_b32_e32 v170, 2, v176
	v_mov_b32_e32 v171, 0
	v_mul_f64 v[198:199], v[202:203], v[58:59]
	v_mul_f64 v[58:59], v[96:97], v[58:59]
	;; [unrolled: 1-line block ×21, first 2 shown]
	v_fma_f64 v[96:97], v[96:97], v[56:57], -v[198:199]
	v_fma_f64 v[56:57], v[202:203], v[56:57], v[58:59]
	v_mul_f64 v[26:27], v[66:67], v[26:27]
	v_mul_f64 v[58:59], v[160:161], v[38:39]
	v_fma_f64 v[98:99], v[98:99], v[72:73], -v[210:211]
	v_mul_f64 v[38:39], v[48:49], v[38:39]
	v_mul_f64 v[198:199], v[156:157], v[134:135]
	v_fma_f64 v[72:73], v[204:205], v[72:73], v[74:75]
	v_mul_f64 v[74:75], v[80:81], v[134:135]
	v_mul_f64 v[134:135], v[166:167], v[130:131]
	;; [unrolled: 1-line block ×4, first 2 shown]
	v_fma_f64 v[88:89], v[88:89], v[40:41], -v[212:213]
	v_fma_f64 v[40:41], v[206:207], v[40:41], v[42:43]
	v_mul_f64 v[42:43], v[76:77], v[126:127]
	v_mul_f64 v[126:127], v[162:163], v[122:123]
	v_fma_f64 v[90:91], v[90:91], v[104:105], -v[218:219]
	v_mul_f64 v[122:123], v[50:51], v[122:123]
	v_mul_f64 v[204:205], v[148:149], v[118:119]
	v_fma_f64 v[104:105], v[208:209], v[104:105], v[106:107]
	v_mul_f64 v[106:107], v[68:69], v[118:119]
	v_mul_f64 v[118:119], v[142:143], v[114:115]
	v_mul_f64 v[114:115], v[62:63], v[114:115]
	v_mul_f64 v[206:207], v[144:145], v[110:111]
	v_fma_f64 v[82:83], v[82:83], v[8:9], -v[200:201]
	v_fma_f64 v[8:9], v[158:159], v[8:9], v[10:11]
	v_mul_f64 v[10:11], v[64:65], v[110:111]
	v_mul_f64 v[110:111], v[138:139], v[102:103]
	v_fma_f64 v[78:79], v[78:79], v[16:17], -v[214:215]
	v_fma_f64 v[16:17], v[154:155], v[16:17], v[18:19]
	v_fma_f64 v[60:61], v[60:61], v[12:13], -v[216:217]
	v_fma_f64 v[12:13], v[140:141], v[12:13], v[14:15]
	;; [unrolled: 2-line block ×3, first 2 shown]
	v_mul_f64 v[18:19], v[54:55], v[102:103]
	v_fma_f64 v[22:23], v[70:71], v[32:33], -v[222:223]
	v_fma_f64 v[32:33], v[150:151], v[32:33], v[34:35]
	v_fma_f64 v[34:35], v[84:85], v[28:29], -v[224:225]
	v_fma_f64 v[28:29], v[164:165], v[28:29], v[30:31]
	;; [unrolled: 2-line block ×7, first 2 shown]
	v_fma_f64 v[70:71], v[162:163], v[120:121], v[122:123]
	v_fma_f64 v[68:69], v[68:69], v[116:117], -v[204:205]
	v_fma_f64 v[74:75], v[148:149], v[116:117], v[106:107]
	v_fma_f64 v[62:63], v[62:63], v[112:113], -v[118:119]
	;; [unrolled: 2-line block ×3, first 2 shown]
	v_fma_f64 v[54:55], v[54:55], v[100:101], -v[110:111]
	v_add_f64 v[102:103], v[96:97], -v[82:83]
	v_add_f64 v[106:107], v[78:79], -v[88:89]
	;; [unrolled: 1-line block ×4, first 2 shown]
	v_add_f64 v[114:115], v[174:175], v[56:57]
	v_fma_f64 v[50:51], v[50:51], v[120:121], -v[126:127]
	v_fma_f64 v[10:11], v[144:145], v[108:109], v[10:11]
	v_add_f64 v[86:87], v[56:57], -v[16:17]
	v_add_f64 v[120:121], v[56:57], -v[8:9]
	v_add_f64 v[124:125], v[56:57], v[16:17]
	v_add_f64 v[56:57], v[8:9], -v[56:57]
	v_add_f64 v[126:127], v[40:41], -v[16:17]
	v_add_f64 v[128:129], v[92:93], v[98:99]
	v_add_f64 v[132:133], v[72:73], -v[20:21]
	v_add_f64 v[146:147], v[0:1], v[72:73]
	v_add_f64 v[152:153], v[72:73], -v[12:13]
	v_add_f64 v[154:155], v[20:21], -v[104:105]
	v_add_f64 v[156:157], v[72:73], v[20:21]
	v_add_f64 v[72:73], v[12:13], -v[72:73]
	v_add_f64 v[158:159], v[104:105], -v[20:21]
	v_fma_f64 v[18:19], v[138:139], v[100:101], v[18:19]
	v_add_f64 v[136:137], v[98:99], -v[60:61]
	v_add_f64 v[138:139], v[14:15], -v[90:91]
	v_add_f64 v[208:209], v[4:5], v[32:33]
	v_add_f64 v[80:81], v[172:173], v[96:97]
	;; [unrolled: 1-line block ×5, first 2 shown]
	v_add_f64 v[142:143], v[60:61], -v[98:99]
	v_add_f64 v[144:145], v[90:91], -v[14:15]
	v_add_f64 v[130:131], v[60:61], v[90:91]
	v_add_f64 v[140:141], v[98:99], v[14:15]
	;; [unrolled: 1-line block ×3, first 2 shown]
	v_add_f64 v[100:101], v[8:9], -v[40:41]
	v_add_f64 v[122:123], v[16:17], -v[40:41]
	v_add_f64 v[160:161], v[44:45], v[22:23]
	v_add_f64 v[162:163], v[34:35], v[30:31]
	v_add_f64 v[198:199], v[22:23], -v[34:35]
	v_add_f64 v[200:201], v[26:27], -v[30:31]
	v_add_f64 v[202:203], v[22:23], v[26:27]
	v_add_f64 v[204:205], v[34:35], -v[22:23]
	v_add_f64 v[206:207], v[30:31], -v[26:27]
	v_add_f64 v[210:211], v[28:29], v[24:25]
	v_add_f64 v[218:219], v[32:33], v[36:37]
	;; [unrolled: 1-line block ×12, first 2 shown]
	v_add_f64 v[150:151], v[60:61], -v[90:91]
	v_add_f64 v[56:57], v[56:57], v[126:127]
	v_add_f64 v[126:127], v[68:69], -v[62:63]
	v_add_f64 v[60:61], v[128:129], v[60:61]
	;; [unrolled: 2-line block ×3, first 2 shown]
	v_add_f64 v[154:155], v[2:3], v[74:75]
	v_add_f64 v[72:73], v[72:73], v[158:159]
	;; [unrolled: 1-line block ×3, first 2 shown]
	v_add_f64 v[164:165], v[32:33], -v[36:37]
	v_add_f64 v[166:167], v[28:29], -v[24:25]
	;; [unrolled: 1-line block ×5, first 2 shown]
	v_add_f64 v[234:235], v[38:39], v[50:51]
	v_add_f64 v[136:137], v[136:137], v[138:139]
	;; [unrolled: 1-line block ×5, first 2 shown]
	v_add_f64 v[96:97], v[96:97], -v[78:79]
	v_add_f64 v[80:81], v[80:81], v[82:83]
	v_fma_f64 v[84:85], v[84:85], -0.5, v[172:173]
	v_fma_f64 v[108:109], v[108:109], -0.5, v[172:173]
	v_fma_f64 v[116:117], v[116:117], -0.5, v[174:175]
	v_add_f64 v[118:119], v[82:83], -v[88:89]
	v_add_f64 v[134:135], v[12:13], -v[104:105]
	v_fma_f64 v[124:125], v[124:125], -0.5, v[174:175]
	v_add_f64 v[142:143], v[142:143], v[144:145]
	v_add_f64 v[144:145], v[62:63], -v[68:69]
	v_add_f64 v[12:13], v[146:147], v[12:13]
	v_add_f64 v[146:147], v[64:65], -v[54:55]
	v_add_f64 v[98:99], v[98:99], -v[14:15]
	v_fma_f64 v[130:131], v[130:131], -0.5, v[92:93]
	v_fma_f64 v[92:93], v[140:141], -0.5, v[92:93]
	;; [unrolled: 1-line block ×4, first 2 shown]
	v_add_f64 v[22:23], v[22:23], -v[26:27]
	v_add_f64 v[212:213], v[34:35], -v[30:31]
	;; [unrolled: 1-line block ×11, first 2 shown]
	v_add_f64 v[120:121], v[120:121], v[122:123]
	v_add_f64 v[122:123], v[74:75], -v[18:19]
	v_add_f64 v[34:35], v[160:161], v[34:35]
	v_add_f64 v[160:161], v[62:63], -v[64:65]
	;; [unrolled: 2-line block ×4, first 2 shown]
	v_fma_f64 v[148:149], v[162:163], -0.5, v[44:45]
	v_fma_f64 v[44:45], v[202:203], -0.5, v[44:45]
	;; [unrolled: 1-line block ×4, first 2 shown]
	v_add_f64 v[52:53], v[222:223], v[52:53]
	v_fma_f64 v[162:163], v[224:225], -0.5, v[46:47]
	v_add_f64 v[58:59], v[240:241], v[58:59]
	v_fma_f64 v[218:219], v[242:243], -0.5, v[6:7]
	v_fma_f64 v[6:7], v[106:107], -0.5, v[6:7]
	v_add_f64 v[62:63], v[112:113], v[62:63]
	v_fma_f64 v[106:107], v[114:115], -0.5, v[94:95]
	v_add_f64 v[174:175], v[76:77], -v[10:11]
	v_add_f64 v[68:69], v[68:69], -v[54:55]
	;; [unrolled: 1-line block ×3, first 2 shown]
	v_add_f64 v[112:113], v[126:127], v[128:129]
	v_add_f64 v[76:77], v[154:155], v[76:77]
	v_fma_f64 v[126:127], v[158:159], -0.5, v[2:3]
	v_add_f64 v[214:215], v[214:215], v[216:217]
	v_add_f64 v[216:217], v[10:11], -v[18:19]
	v_fma_f64 v[46:47], v[234:235], -0.5, v[46:47]
	v_fma_f64 v[94:95], v[138:139], -0.5, v[94:95]
	;; [unrolled: 1-line block ×3, first 2 shown]
	v_add_f64 v[80:81], v[80:81], v[88:89]
	v_fma_f64 v[88:89], v[86:87], s[14:15], v[84:85]
	v_fma_f64 v[84:85], v[86:87], s[16:17], v[84:85]
	;; [unrolled: 1-line block ×3, first 2 shown]
	v_add_f64 v[8:9], v[8:9], v[40:41]
	v_fma_f64 v[40:41], v[96:97], s[16:17], v[116:117]
	v_add_f64 v[114:115], v[144:145], v[146:147]
	v_fma_f64 v[108:109], v[100:101], s[14:15], v[108:109]
	v_fma_f64 v[144:145], v[118:119], s[14:15], v[124:125]
	;; [unrolled: 1-line block ×4, first 2 shown]
	v_add_f64 v[60:61], v[60:61], v[90:91]
	v_fma_f64 v[90:91], v[132:133], s[14:15], v[130:131]
	v_add_f64 v[12:13], v[12:13], v[104:105]
	v_fma_f64 v[104:105], v[98:99], s[16:17], v[140:141]
	v_fma_f64 v[146:147], v[134:135], s[16:17], v[92:93]
	;; [unrolled: 1-line block ×5, first 2 shown]
	v_add_f64 v[220:221], v[24:25], -v[36:37]
	v_add_f64 v[232:233], v[50:51], -v[66:67]
	v_add_f64 v[238:239], v[66:67], -v[50:51]
	v_add_f64 v[82:83], v[70:71], -v[42:43]
	v_add_f64 v[48:49], v[48:49], v[172:173]
	v_add_f64 v[128:129], v[200:201], v[206:207]
	v_fma_f64 v[130:131], v[132:133], s[16:17], v[130:131]
	v_fma_f64 v[140:141], v[98:99], s[14:15], v[140:141]
	;; [unrolled: 1-line block ×3, first 2 shown]
	v_add_f64 v[24:25], v[28:29], v[24:25]
	v_fma_f64 v[28:29], v[22:23], s[16:17], v[156:157]
	v_fma_f64 v[172:173], v[212:213], s[14:15], v[4:5]
	;; [unrolled: 1-line block ×3, first 2 shown]
	v_add_f64 v[52:53], v[52:53], v[66:67]
	v_fma_f64 v[66:67], v[226:227], s[14:15], v[162:163]
	v_fma_f64 v[162:163], v[226:227], s[16:17], v[162:163]
	v_add_f64 v[42:43], v[58:59], v[42:43]
	v_fma_f64 v[58:59], v[38:39], s[16:17], v[218:219]
	v_fma_f64 v[206:207], v[38:39], s[14:15], v[218:219]
	;; [unrolled: 1-line block ×4, first 2 shown]
	v_add_f64 v[62:63], v[62:63], v[64:65]
	v_fma_f64 v[64:65], v[122:123], s[14:15], v[106:107]
	v_fma_f64 v[106:107], v[122:123], s[16:17], v[106:107]
	v_add_f64 v[10:11], v[76:77], v[10:11]
	v_fma_f64 v[76:77], v[68:69], s[16:17], v[126:127]
	v_add_f64 v[74:75], v[74:75], v[216:217]
	v_add_f64 v[30:31], v[34:35], v[30:31]
	v_fma_f64 v[34:35], v[164:165], s[14:15], v[148:149]
	v_fma_f64 v[148:149], v[164:165], s[16:17], v[148:149]
	;; [unrolled: 1-line block ×11, first 2 shown]
	v_add_f64 v[78:79], v[80:81], v[78:79]
	v_fma_f64 v[80:81], v[100:101], s[6:7], v[88:89]
	v_fma_f64 v[84:85], v[100:101], s[10:11], v[84:85]
	;; [unrolled: 1-line block ×3, first 2 shown]
	v_add_f64 v[100:101], v[8:9], v[16:17]
	v_fma_f64 v[8:9], v[118:119], s[10:11], v[40:41]
	v_fma_f64 v[86:87], v[86:87], s[10:11], v[108:109]
	;; [unrolled: 1-line block ×5, first 2 shown]
	v_add_f64 v[14:15], v[60:61], v[14:15]
	v_fma_f64 v[60:61], v[134:135], s[6:7], v[90:91]
	v_add_f64 v[116:117], v[12:13], v[20:21]
	v_fma_f64 v[12:13], v[150:151], s[10:11], v[104:105]
	v_fma_f64 v[108:109], v[132:133], s[6:7], v[146:147]
	;; [unrolled: 1-line block ×5, first 2 shown]
	v_add_f64 v[32:33], v[32:33], v[220:221]
	v_add_f64 v[202:203], v[230:231], v[232:233]
	;; [unrolled: 1-line block ×3, first 2 shown]
	v_fma_f64 v[90:91], v[134:135], s[10:11], v[130:131]
	v_fma_f64 v[20:21], v[150:151], s[6:7], v[140:141]
	;; [unrolled: 1-line block ×3, first 2 shown]
	v_add_f64 v[118:119], v[24:25], v[36:37]
	v_fma_f64 v[24:25], v[212:213], s[10:11], v[28:29]
	v_fma_f64 v[36:37], v[22:23], s[10:11], v[172:173]
	;; [unrolled: 1-line block ×3, first 2 shown]
	v_add_f64 v[22:23], v[52:53], v[50:51]
	v_fma_f64 v[52:53], v[228:229], s[10:11], v[162:163]
	v_add_f64 v[70:71], v[42:43], v[70:71]
	v_fma_f64 v[42:43], v[244:245], s[10:11], v[58:59]
	v_fma_f64 v[58:59], v[244:245], s[6:7], v[206:207]
	;; [unrolled: 1-line block ×4, first 2 shown]
	v_add_f64 v[38:39], v[62:63], v[54:55]
	v_fma_f64 v[54:55], v[174:175], s[6:7], v[64:65]
	v_fma_f64 v[62:63], v[174:175], s[10:11], v[106:107]
	v_add_f64 v[106:107], v[10:11], v[18:19]
	v_fma_f64 v[10:11], v[160:161], s[10:11], v[76:77]
	v_add_f64 v[210:211], v[236:237], v[238:239]
	v_add_f64 v[26:27], v[30:31], v[26:27]
	v_fma_f64 v[30:31], v[166:167], s[6:7], v[34:35]
	v_fma_f64 v[34:35], v[166:167], s[10:11], v[148:149]
	;; [unrolled: 1-line block ×52, first 2 shown]
	ds_write2_b64 v248, v[78:79], v[68:69] offset1:13
	ds_write2_b64 v248, v[84:85], v[86:87] offset0:26 offset1:39
	ds_write_b64 v248, v[80:81] offset:416
	ds_write2_b64 v249, v[14:15], v[8:9] offset1:13
	ds_write2_b64 v249, v[40:41], v[56:57] offset0:26 offset1:39
	ds_write_b64 v249, v[16:17] offset:416
	;; [unrolled: 3-line block ×5, first 2 shown]
	s_waitcnt lgkmcnt(0)
	s_barrier
	buffer_gl0_inv
	ds_read_b64 v[56:57], v179
	ds_read2_b64 v[44:47], v183 offset0:69 offset1:134
	ds_read2_b64 v[12:15], v184 offset0:73 offset1:138
	;; [unrolled: 1-line block ×12, first 2 shown]
	s_waitcnt lgkmcnt(0)
	s_barrier
	buffer_gl0_inv
	ds_write2_b64 v248, v[100:101], v[88:89] offset1:13
	ds_write2_b64 v248, v[110:111], v[96:97] offset0:26 offset1:39
	ds_write_b64 v248, v[102:103] offset:416
	ds_write2_b64 v249, v[116:117], v[60:61] offset1:13
	ds_write2_b64 v249, v[92:93], v[72:73] offset0:26 offset1:39
	ds_write_b64 v249, v[90:91] offset:416
	;; [unrolled: 3-line block ×4, first 2 shown]
	ds_write2_b64 v251, v[70:71], v[50:51] offset1:13
	v_mov_b32_e32 v62, 0xfc1
	v_mul_lo_u16 v54, 0xfd, v197
	ds_write2_b64 v251, v[58:59], v[48:49] offset0:26 offset1:39
	ds_write_b64 v251, v[52:53] offset:416
	v_lshlrev_b64 v[50:51], 4, v[170:171]
	s_waitcnt lgkmcnt(0)
	v_mul_u32_u24_sdwa v52, v181, v62 dst_sel:DWORD dst_unused:UNUSED_PAD src0_sel:WORD_0 src1_sel:DWORD
	v_lshrrev_b16 v48, 14, v54
	s_barrier
	buffer_gl0_inv
	v_add_co_u32 v64, s0, s8, v50
	v_lshrrev_b32_e32 v63, 18, v52
	v_mul_lo_u16 v53, 0x41, v48
	v_add_co_ci_u32_e64 v65, s0, s9, v51, s0
	s_clause 0x1
	global_load_dwordx4 v[58:61], v[64:65], off offset:832
	global_load_dwordx4 v[48:51], v[64:65], off offset:848
	v_mul_lo_u16 v63, 0x41, v63
	v_sub_nc_u16 v118, v182, v53
	v_mul_u32_u24_sdwa v62, v178, v62 dst_sel:DWORD dst_unused:UNUSED_PAD src0_sel:WORD_0 src1_sel:DWORD
	s_clause 0x1
	global_load_dwordx4 v[66:69], v[64:65], off offset:864
	global_load_dwordx4 v[52:55], v[64:65], off offset:880
	v_sub_nc_u16 v63, v181, v63
	v_lshlrev_b32_sdwa v82, v195, v118 dst_sel:DWORD dst_unused:UNUSED_PAD src0_sel:DWORD src1_sel:BYTE_0
	s_clause 0x1
	global_load_dwordx4 v[70:73], v82, s[8:9] offset:832
	global_load_dwordx4 v[74:77], v82, s[8:9] offset:848
	v_lshlrev_b32_sdwa v98, v195, v63 dst_sel:DWORD dst_unused:UNUSED_PAD src0_sel:DWORD src1_sel:WORD_0
	s_clause 0x3
	global_load_dwordx4 v[78:81], v82, s[8:9] offset:864
	global_load_dwordx4 v[82:85], v82, s[8:9] offset:880
	;; [unrolled: 1-line block ×4, first 2 shown]
	v_lshrrev_b32_e32 v62, 18, v62
	global_load_dwordx4 v[94:97], v98, s[8:9] offset:864
	v_lshlrev_b32_sdwa v118, v196, v118 dst_sel:DWORD dst_unused:UNUSED_PAD src0_sel:DWORD src1_sel:BYTE_0
	v_lshlrev_b32_sdwa v63, v196, v63 dst_sel:DWORD dst_unused:UNUSED_PAD src0_sel:DWORD src1_sel:WORD_0
	v_mul_lo_u16 v62, 0x41, v62
	v_add3_u32 v247, 0, v118, v194
	v_add3_u32 v170, 0, v63, v194
	v_sub_nc_u16 v62, v178, v62
	v_add_nc_u32_e32 v251, 0x1000, v247
	v_add_nc_u32_e32 v248, 0x1c00, v170
	;; [unrolled: 1-line block ×3, first 2 shown]
	v_lshlrev_b32_sdwa v114, v195, v62 dst_sel:DWORD dst_unused:UNUSED_PAD src0_sel:DWORD src1_sel:WORD_0
	s_clause 0x4
	global_load_dwordx4 v[98:101], v98, s[8:9] offset:880
	global_load_dwordx4 v[102:105], v114, s[8:9] offset:832
	;; [unrolled: 1-line block ×5, first 2 shown]
	v_lshlrev_b32_sdwa v62, v196, v62 dst_sel:DWORD dst_unused:UNUSED_PAD src0_sel:DWORD src1_sel:WORD_0
	ds_read2_b64 v[118:121], v183 offset0:69 offset1:134
	ds_read2_b64 v[122:125], v184 offset0:73 offset1:138
	;; [unrolled: 1-line block ×4, first 2 shown]
	v_add3_u32 v246, 0, v62, v194
	ds_read_b64 v[62:63], v179
	ds_read2_b64 v[134:137], v180 offset0:65 offset1:130
	ds_read2_b64 v[138:141], v187 offset0:75 offset1:140
	;; [unrolled: 1-line block ×8, first 2 shown]
	v_add_nc_u32_e32 v252, 0x1800, v247
	s_waitcnt vmcnt(0) lgkmcnt(0)
	s_barrier
	v_add_nc_u32_e32 v250, 0x2800, v246
	buffer_gl0_inv
	v_mul_f64 v[166:167], v[118:119], v[60:61]
	v_mul_f64 v[172:173], v[44:45], v[60:61]
	;; [unrolled: 1-line block ×27, first 2 shown]
	v_fma_f64 v[44:45], v[44:45], v[58:59], -v[166:167]
	v_mul_f64 v[88:89], v[30:31], v[88:89]
	v_mul_f64 v[92:93], v[20:21], v[92:93]
	v_fma_f64 v[46:47], v[46:47], v[58:59], -v[204:205]
	v_mul_f64 v[96:97], v[26:27], v[96:97]
	v_fma_f64 v[118:119], v[118:119], v[58:59], v[172:173]
	v_fma_f64 v[58:59], v[120:121], v[58:59], v[60:61]
	v_mul_f64 v[166:167], v[162:163], v[100:101]
	v_mul_f64 v[60:61], v[16:17], v[100:101]
	;; [unrolled: 1-line block ×5, first 2 shown]
	v_fma_f64 v[40:41], v[40:41], v[66:67], -v[196:197]
	v_fma_f64 v[42:43], v[42:43], v[66:67], -v[208:209]
	v_mul_f64 v[172:173], v[130:131], v[112:113]
	v_fma_f64 v[14:15], v[14:15], v[48:49], -v[174:175]
	v_fma_f64 v[10:11], v[10:11], v[52:53], -v[200:201]
	v_fma_f64 v[36:37], v[36:37], v[48:49], -v[206:207]
	v_fma_f64 v[32:33], v[32:33], v[52:53], -v[210:211]
	v_fma_f64 v[28:29], v[28:29], v[70:71], -v[212:213]
	v_fma_f64 v[38:39], v[38:39], v[74:75], -v[214:215]
	v_fma_f64 v[24:25], v[24:25], v[78:79], -v[216:217]
	v_fma_f64 v[34:35], v[34:35], v[82:83], -v[218:219]
	v_fma_f64 v[126:127], v[126:127], v[66:67], v[198:199]
	v_fma_f64 v[66:67], v[128:129], v[66:67], v[68:69]
	v_mul_f64 v[68:69], v[8:9], v[112:113]
	v_mul_f64 v[112:113], v[164:165], v[116:117]
	;; [unrolled: 1-line block ×3, first 2 shown]
	v_fma_f64 v[124:125], v[124:125], v[48:49], v[194:195]
	v_fma_f64 v[128:129], v[132:133], v[52:53], v[202:203]
	v_mul_f64 v[108:109], v[22:23], v[108:109]
	v_fma_f64 v[48:49], v[138:139], v[48:49], v[50:51]
	v_fma_f64 v[50:51], v[142:143], v[52:53], v[54:55]
	;; [unrolled: 1-line block ×5, first 2 shown]
	v_fma_f64 v[30:31], v[30:31], v[86:87], -v[220:221]
	v_fma_f64 v[20:21], v[20:21], v[90:91], -v[222:223]
	;; [unrolled: 1-line block ×3, first 2 shown]
	v_fma_f64 v[72:73], v[144:145], v[82:83], v[84:85]
	v_fma_f64 v[16:17], v[16:17], v[98:99], -v[166:167]
	v_fma_f64 v[74:75], v[148:149], v[86:87], v[88:89]
	v_fma_f64 v[76:77], v[158:159], v[90:91], v[92:93]
	;; [unrolled: 1-line block ×4, first 2 shown]
	v_fma_f64 v[12:13], v[12:13], v[102:103], -v[100:101]
	v_fma_f64 v[80:81], v[122:123], v[102:103], v[104:105]
	v_fma_f64 v[22:23], v[22:23], v[106:107], -v[120:121]
	v_fma_f64 v[8:9], v[8:9], v[110:111], -v[172:173]
	v_add_f64 v[86:87], v[56:57], v[44:45]
	v_add_f64 v[88:89], v[14:15], v[40:41]
	v_add_f64 v[94:95], v[44:45], -v[14:15]
	v_add_f64 v[96:97], v[10:11], -v[40:41]
	v_add_f64 v[98:99], v[44:45], v[10:11]
	v_add_f64 v[122:123], v[36:37], v[42:43]
	;; [unrolled: 1-line block ×5, first 2 shown]
	v_fma_f64 v[68:69], v[130:131], v[110:111], v[68:69]
	v_fma_f64 v[18:19], v[18:19], v[114:115], -v[112:113]
	v_fma_f64 v[84:85], v[164:165], v[114:115], v[116:117]
	v_add_f64 v[90:91], v[118:119], -v[128:129]
	v_add_f64 v[104:105], v[62:63], v[118:119]
	v_add_f64 v[110:111], v[118:119], -v[124:125]
	v_add_f64 v[114:115], v[118:119], v[128:129]
	v_add_f64 v[116:117], v[124:125], -v[118:119]
	v_add_f64 v[118:119], v[126:127], -v[128:129]
	;; [unrolled: 1-line block ×4, first 2 shown]
	v_add_f64 v[120:121], v[4:5], v[46:47]
	v_add_f64 v[138:139], v[46:47], -v[36:37]
	v_add_f64 v[140:141], v[32:33], -v[42:43]
	v_fma_f64 v[82:83], v[160:161], v[106:107], v[108:109]
	v_add_f64 v[106:107], v[124:125], v[126:127]
	v_add_f64 v[144:145], v[36:37], -v[46:47]
	v_add_f64 v[146:147], v[42:43], -v[32:33]
	v_add_f64 v[166:167], v[6:7], v[28:29]
	v_add_f64 v[112:113], v[128:129], -v[126:127]
	v_add_f64 v[148:149], v[134:135], v[58:59]
	v_add_f64 v[150:151], v[48:49], v[66:67]
	;; [unrolled: 1-line block ×6, first 2 shown]
	v_add_f64 v[130:131], v[58:59], -v[50:51]
	v_add_f64 v[158:159], v[58:59], -v[48:49]
	;; [unrolled: 1-line block ×4, first 2 shown]
	v_add_f64 v[216:217], v[52:53], v[72:73]
	v_add_f64 v[232:233], v[30:31], v[16:17]
	v_add_f64 v[100:101], v[14:15], -v[44:45]
	v_add_f64 v[102:103], v[40:41], -v[10:11]
	;; [unrolled: 1-line block ×5, first 2 shown]
	v_add_f64 v[238:239], v[154:155], v[74:75]
	v_add_f64 v[244:245], v[74:75], -v[76:77]
	v_fma_f64 v[122:123], v[122:123], -0.5, v[4:5]
	v_fma_f64 v[4:5], v[142:143], -0.5, v[4:5]
	;; [unrolled: 1-line block ×4, first 2 shown]
	v_add_f64 v[200:201], v[74:75], v[60:61]
	v_add_f64 v[74:75], v[76:77], -v[74:75]
	v_add_f64 v[14:15], v[86:87], v[14:15]
	v_add_f64 v[86:87], v[78:79], -v[60:61]
	v_add_f64 v[94:95], v[94:95], v[96:97]
	v_add_f64 v[96:97], v[2:3], v[12:13]
	v_fma_f64 v[88:89], v[88:89], -0.5, v[56:57]
	v_fma_f64 v[56:57], v[98:99], -0.5, v[56:57]
	v_add_f64 v[98:99], v[22:23], v[8:9]
	v_add_f64 v[116:117], v[116:117], v[118:119]
	;; [unrolled: 1-line block ×3, first 2 shown]
	v_add_f64 v[202:203], v[38:39], -v[28:29]
	v_add_f64 v[204:205], v[24:25], -v[34:35]
	v_add_f64 v[240:241], v[76:77], v[78:79]
	v_add_f64 v[196:197], v[196:197], v[198:199]
	;; [unrolled: 1-line block ×3, first 2 shown]
	v_add_f64 v[92:93], v[124:125], -v[126:127]
	v_add_f64 v[152:153], v[36:37], -v[42:43]
	v_add_f64 v[36:37], v[120:121], v[36:37]
	v_add_f64 v[120:121], v[22:23], -v[12:13]
	v_add_f64 v[138:139], v[138:139], v[140:141]
	v_add_f64 v[140:141], v[8:9], -v[18:19]
	v_add_f64 v[44:45], v[44:45], -v[10:11]
	;; [unrolled: 1-line block ×3, first 2 shown]
	v_add_f64 v[104:105], v[104:105], v[124:125]
	v_fma_f64 v[106:107], v[106:107], -0.5, v[62:63]
	v_fma_f64 v[62:63], v[114:115], -0.5, v[62:63]
	v_add_f64 v[144:145], v[144:145], v[146:147]
	v_add_f64 v[146:147], v[156:157], v[80:81]
	v_add_f64 v[174:175], v[52:53], -v[72:73]
	v_add_f64 v[210:211], v[38:39], -v[24:25]
	v_add_f64 v[38:39], v[166:167], v[38:39]
	v_add_f64 v[46:47], v[46:47], -v[32:33]
	v_add_f64 v[194:195], v[54:55], -v[70:71]
	;; [unrolled: 3-line block ×3, first 2 shown]
	v_add_f64 v[48:49], v[148:149], v[48:49]
	v_add_f64 v[148:149], v[82:83], v[68:69]
	v_fma_f64 v[150:151], v[150:151], -0.5, v[134:135]
	v_fma_f64 v[134:135], v[162:163], -0.5, v[134:135]
	v_add_f64 v[228:229], v[30:31], -v[20:21]
	v_add_f64 v[234:235], v[20:21], -v[30:31]
	;; [unrolled: 1-line block ×3, first 2 shown]
	v_fma_f64 v[162:163], v[208:209], -0.5, v[136:137]
	v_add_f64 v[20:21], v[220:221], v[20:21]
	v_fma_f64 v[208:209], v[222:223], -0.5, v[0:1]
	v_add_f64 v[206:207], v[136:137], v[52:53]
	v_add_f64 v[226:227], v[76:77], -v[78:79]
	v_add_f64 v[58:59], v[58:59], v[164:165]
	v_add_f64 v[164:165], v[80:81], -v[82:83]
	v_add_f64 v[166:167], v[84:85], -v[68:69]
	v_fma_f64 v[136:137], v[216:217], -0.5, v[136:137]
	v_fma_f64 v[0:1], v[232:233], -0.5, v[0:1]
	v_add_f64 v[100:101], v[100:101], v[102:103]
	v_add_f64 v[102:103], v[80:81], -v[84:85]
	v_add_f64 v[158:159], v[158:159], v[160:161]
	v_add_f64 v[160:161], v[22:23], -v[8:9]
	v_add_f64 v[74:75], v[74:75], v[86:87]
	v_add_f64 v[22:23], v[96:97], v[22:23]
	v_fma_f64 v[86:87], v[98:99], -0.5, v[2:3]
	v_add_f64 v[124:125], v[82:83], -v[68:69]
	v_fma_f64 v[2:3], v[118:119], -0.5, v[2:3]
	v_add_f64 v[30:31], v[30:31], -v[16:17]
	v_add_f64 v[80:81], v[82:83], -v[80:81]
	v_add_f64 v[202:203], v[202:203], v[204:205]
	v_add_f64 v[204:205], v[68:69], -v[84:85]
	v_add_f64 v[76:77], v[238:239], v[76:77]
	v_fma_f64 v[216:217], v[240:241], -0.5, v[154:155]
	v_fma_f64 v[154:155], v[200:201], -0.5, v[154:155]
	;; [unrolled: 1-line block ×3, first 2 shown]
	v_add_f64 v[14:15], v[14:15], v[40:41]
	v_fma_f64 v[40:41], v[90:91], s[14:15], v[88:89]
	v_add_f64 v[98:99], v[120:121], v[140:141]
	v_fma_f64 v[88:89], v[90:91], s[16:17], v[88:89]
	v_fma_f64 v[120:121], v[92:93], s[16:17], v[56:57]
	;; [unrolled: 1-line block ×3, first 2 shown]
	v_add_f64 v[82:83], v[146:147], v[82:83]
	v_add_f64 v[104:105], v[104:105], v[126:127]
	v_fma_f64 v[126:127], v[44:45], s[16:17], v[106:107]
	v_fma_f64 v[106:107], v[44:45], s[14:15], v[106:107]
	;; [unrolled: 1-line block ×4, first 2 shown]
	v_add_f64 v[36:37], v[36:37], v[42:43]
	v_fma_f64 v[42:43], v[130:131], s[14:15], v[122:123]
	v_fma_f64 v[146:147], v[132:133], s[16:17], v[4:5]
	;; [unrolled: 1-line block ×4, first 2 shown]
	v_add_f64 v[24:25], v[38:39], v[24:25]
	v_fma_f64 v[38:39], v[174:175], s[14:15], v[142:143]
	v_add_f64 v[96:97], v[112:113], v[114:115]
	v_fma_f64 v[112:113], v[148:149], -0.5, v[156:157]
	v_add_f64 v[48:49], v[48:49], v[66:67]
	v_fma_f64 v[66:67], v[46:47], s[16:17], v[150:151]
	v_fma_f64 v[148:149], v[46:47], s[14:15], v[150:151]
	;; [unrolled: 1-line block ×7, first 2 shown]
	v_add_f64 v[212:213], v[52:53], -v[54:55]
	v_add_f64 v[214:215], v[72:73], -v[70:71]
	;; [unrolled: 1-line block ×4, first 2 shown]
	v_add_f64 v[20:21], v[20:21], v[26:27]
	v_fma_f64 v[26:27], v[224:225], s[14:15], v[208:209]
	v_add_f64 v[28:29], v[28:29], -v[34:35]
	v_add_f64 v[52:53], v[54:55], -v[52:53]
	;; [unrolled: 1-line block ×3, first 2 shown]
	v_add_f64 v[54:55], v[206:207], v[54:55]
	v_add_f64 v[114:115], v[164:165], v[166:167]
	v_fma_f64 v[164:165], v[210:211], s[14:15], v[136:137]
	v_fma_f64 v[136:137], v[210:211], s[16:17], v[136:137]
	;; [unrolled: 1-line block ×5, first 2 shown]
	v_add_f64 v[8:9], v[22:23], v[8:9]
	v_fma_f64 v[22:23], v[102:103], s[14:15], v[86:87]
	v_fma_f64 v[86:87], v[102:103], s[16:17], v[86:87]
	;; [unrolled: 1-line block ×4, first 2 shown]
	v_add_f64 v[12:13], v[12:13], -v[18:19]
	v_add_f64 v[172:173], v[60:61], -v[78:79]
	v_add_f64 v[80:81], v[80:81], v[204:205]
	v_add_f64 v[76:77], v[76:77], v[78:79]
	v_fma_f64 v[78:79], v[30:31], s[16:17], v[216:217]
	v_fma_f64 v[200:201], v[30:31], s[14:15], v[216:217]
	;; [unrolled: 1-line block ×6, first 2 shown]
	v_add_f64 v[10:11], v[14:15], v[10:11]
	v_fma_f64 v[14:15], v[92:93], s[6:7], v[40:41]
	v_fma_f64 v[40:41], v[92:93], s[10:11], v[88:89]
	;; [unrolled: 1-line block ×4, first 2 shown]
	v_add_f64 v[90:91], v[104:105], v[128:129]
	v_fma_f64 v[104:105], v[108:109], s[6:7], v[106:107]
	v_fma_f64 v[106:107], v[44:45], s[10:11], v[140:141]
	;; [unrolled: 1-line block ×3, first 2 shown]
	v_add_f64 v[32:33], v[36:37], v[32:33]
	v_fma_f64 v[36:37], v[132:133], s[6:7], v[42:43]
	v_fma_f64 v[62:63], v[130:131], s[6:7], v[146:147]
	;; [unrolled: 1-line block ×4, first 2 shown]
	v_add_f64 v[24:25], v[24:25], v[34:35]
	v_fma_f64 v[34:35], v[194:195], s[6:7], v[38:39]
	v_fma_f64 v[92:93], v[108:109], s[10:11], v[126:127]
	;; [unrolled: 1-line block ×7, first 2 shown]
	v_add_f64 v[206:207], v[212:213], v[214:215]
	v_add_f64 v[212:213], v[228:229], v[230:231]
	;; [unrolled: 1-line block ×3, first 2 shown]
	v_fma_f64 v[20:21], v[226:227], s[6:7], v[26:27]
	v_add_f64 v[52:53], v[52:53], v[218:219]
	v_add_f64 v[214:215], v[234:235], v[236:237]
	;; [unrolled: 1-line block ×3, first 2 shown]
	v_fma_f64 v[70:71], v[28:29], s[16:17], v[162:163]
	v_fma_f64 v[162:163], v[28:29], s[14:15], v[162:163]
	;; [unrolled: 1-line block ×7, first 2 shown]
	v_add_f64 v[8:9], v[8:9], v[18:19]
	v_fma_f64 v[18:19], v[124:125], s[6:7], v[22:23]
	v_add_f64 v[48:49], v[48:49], v[50:51]
	v_fma_f64 v[50:51], v[152:153], s[10:11], v[66:67]
	v_fma_f64 v[66:67], v[152:153], s[6:7], v[148:149]
	;; [unrolled: 1-line block ×5, first 2 shown]
	v_add_f64 v[68:69], v[82:83], v[68:69]
	v_fma_f64 v[82:83], v[12:13], s[16:17], v[112:113]
	v_fma_f64 v[112:113], v[12:13], s[14:15], v[112:113]
	;; [unrolled: 1-line block ×35, first 2 shown]
	v_add_f64 v[54:55], v[54:55], v[72:73]
	v_fma_f64 v[72:73], v[210:211], s[6:7], v[162:163]
	v_add_f64 v[172:173], v[244:245], v[172:173]
	v_add_f64 v[60:61], v[76:77], v[60:61]
	v_fma_f64 v[76:77], v[242:243], s[10:11], v[78:79]
	v_fma_f64 v[78:79], v[242:243], s[6:7], v[200:201]
	;; [unrolled: 1-line block ×3, first 2 shown]
	v_add_f64 v[68:69], v[68:69], v[84:85]
	v_fma_f64 v[84:85], v[160:161], s[6:7], v[112:113]
	v_fma_f64 v[86:87], v[74:75], s[4:5], v[128:129]
	;; [unrolled: 1-line block ×5, first 2 shown]
	ds_write2_b64 v180, v[10:11], v[14:15] offset1:65
	ds_write2_b64 v180, v[88:89], v[56:57] offset0:130 offset1:195
	ds_write2_b64 v183, v[40:41], v[32:33] offset0:4 offset1:69
	;; [unrolled: 1-line block ×6, first 2 shown]
	ds_write_b64 v247, v[38:39] offset:7280
	ds_write2_b64 v248, v[16:17], v[20:21] offset0:79 offset1:144
	ds_write2_b64 v249, v[28:29], v[0:1] offset0:81 offset1:146
	ds_write_b64 v170, v[26:27] offset:9880
	ds_write2_b64 v250, v[8:9], v[18:19] offset0:20 offset1:85
	ds_write2_b64 v250, v[66:67], v[2:3] offset0:150 offset1:215
	ds_write_b64 v246, v[22:23] offset:12480
	s_waitcnt lgkmcnt(0)
	s_barrier
	buffer_gl0_inv
	ds_read_b64 v[66:67], v179
	ds_read2_b64 v[12:15], v183 offset0:69 offset1:134
	ds_read2_b64 v[44:47], v184 offset0:73 offset1:138
	;; [unrolled: 1-line block ×12, first 2 shown]
	v_fma_f64 v[92:93], v[110:111], s[4:5], v[92:93]
	v_fma_f64 v[50:51], v[158:159], s[4:5], v[50:51]
	s_waitcnt lgkmcnt(0)
	v_fma_f64 v[70:71], v[206:207], s[4:5], v[70:71]
	s_barrier
	v_fma_f64 v[72:73], v[206:207], s[4:5], v[72:73]
	buffer_gl0_inv
	v_fma_f64 v[76:77], v[172:173], s[4:5], v[76:77]
	v_fma_f64 v[78:79], v[172:173], s[4:5], v[78:79]
	;; [unrolled: 1-line block ×4, first 2 shown]
	ds_write2_b64 v180, v[90:91], v[92:93] offset1:65
	ds_write2_b64 v180, v[100:101], v[104:105] offset0:130 offset1:195
	ds_write2_b64 v183, v[94:95], v[48:49] offset0:4 offset1:69
	;; [unrolled: 1-line block ×6, first 2 shown]
	ds_write_b64 v247, v[72:73] offset:7280
	ds_write2_b64 v248, v[60:61], v[76:77] offset0:79 offset1:144
	ds_write2_b64 v249, v[86:87], v[74:75] offset0:81 offset1:146
	ds_write_b64 v170, v[78:79] offset:9880
	ds_write2_b64 v250, v[68:69], v[82:83] offset0:20 offset1:85
	ds_write2_b64 v250, v[96:97], v[80:81] offset0:150 offset1:215
	ds_write_b64 v246, v[84:85] offset:12480
	s_waitcnt lgkmcnt(0)
	s_barrier
	buffer_gl0_inv
	s_and_saveexec_b32 s0, vcc_lo
	s_cbranch_execz .LBB0_19
; %bb.18:
	v_lshlrev_b32_e32 v170, 2, v178
	v_mad_u64_u32 v[187:188], null, s2, v176, 0
	v_add_nc_u32_e32 v136, 0x1800, v180
	v_add_nc_u32_e32 v152, 0x800, v180
	v_lshlrev_b64 v[48:49], 4, v[170:171]
	v_lshlrev_b32_e32 v170, 2, v181
	v_add_nc_u32_e32 v140, 0x1000, v180
	v_add_nc_u32_e32 v144, 0x2400, v180
	;; [unrolled: 1-line block ×4, first 2 shown]
	v_add_co_u32 v50, vcc_lo, s8, v48
	v_add_co_ci_u32_e32 v51, vcc_lo, s9, v49, vcc_lo
	v_lshlrev_b64 v[48:49], 4, v[170:171]
	v_add_co_u32 v56, vcc_lo, 0x1380, v50
	v_add_co_ci_u32_e32 v57, vcc_lo, 0, v51, vcc_lo
	v_add_co_u32 v50, vcc_lo, 0x1000, v50
	v_add_co_ci_u32_e32 v51, vcc_lo, 0, v51, vcc_lo
	;; [unrolled: 2-line block ×3, first 2 shown]
	v_lshlrev_b32_e32 v170, 2, v182
	v_add_co_u32 v96, vcc_lo, 0x1380, v68
	v_add_co_ci_u32_e32 v97, vcc_lo, 0, v69, vcc_lo
	v_add_co_u32 v80, vcc_lo, 0x1380, v64
	v_add_co_ci_u32_e32 v81, vcc_lo, 0, v65, vcc_lo
	v_add_co_u32 v64, vcc_lo, 0x1000, v64
	v_lshlrev_b64 v[84:85], 4, v[170:171]
	v_add_co_ci_u32_e32 v65, vcc_lo, 0, v65, vcc_lo
	v_add_co_u32 v92, vcc_lo, 0x1000, v68
	v_add_co_ci_u32_e32 v93, vcc_lo, 0, v69, vcc_lo
	v_add_co_u32 v94, vcc_lo, s8, v84
	v_lshlrev_b32_e32 v170, 2, v177
	v_add_co_ci_u32_e32 v95, vcc_lo, s9, v85, vcc_lo
	s_clause 0x7
	global_load_dwordx4 v[60:63], v[50:51], off offset:896
	global_load_dwordx4 v[52:55], v[56:57], off offset:48
	;; [unrolled: 1-line block ×8, first 2 shown]
	v_add_co_u32 v64, vcc_lo, 0x1380, v94
	v_lshlrev_b64 v[108:109], 4, v[170:171]
	v_add_co_ci_u32_e32 v65, vcc_lo, 0, v95, vcc_lo
	v_add_co_u32 v100, vcc_lo, 0x1000, v94
	v_add_co_ci_u32_e32 v101, vcc_lo, 0, v95, vcc_lo
	v_add_co_u32 v116, vcc_lo, s8, v108
	v_add_co_ci_u32_e32 v117, vcc_lo, s9, v109, vcc_lo
	s_clause 0x7
	global_load_dwordx4 v[84:87], v[96:97], off offset:32
	global_load_dwordx4 v[88:91], v[96:97], off offset:16
	;; [unrolled: 1-line block ×8, first 2 shown]
	v_add_co_u32 v64, vcc_lo, 0x1380, v116
	v_add_co_ci_u32_e32 v65, vcc_lo, 0, v117, vcc_lo
	v_add_co_u32 v120, vcc_lo, 0x1000, v116
	v_add_co_ci_u32_e32 v121, vcc_lo, 0, v117, vcc_lo
	s_clause 0x3
	global_load_dwordx4 v[116:119], v[64:65], off offset:16
	global_load_dwordx4 v[120:123], v[120:121], off offset:896
	;; [unrolled: 1-line block ×4, first 2 shown]
	v_mov_b32_e32 v156, v188
	v_add_nc_u32_e32 v160, 0x400, v180
	v_add_nc_u32_e32 v164, 0xc00, v180
	;; [unrolled: 1-line block ×5, first 2 shown]
	ds_read2_b64 v[132:135], v180 offset0:65 offset1:130
	ds_read_b64 v[179:180], v179
	ds_read2_b64 v[136:139], v136 offset0:77 offset1:142
	ds_read2_b64 v[140:143], v140 offset0:73 offset1:138
	;; [unrolled: 1-line block ×5, first 2 shown]
	v_add_co_u32 v64, vcc_lo, s12, v168
	v_mad_u64_u32 v[191:192], null, s3, v176, v[156:157]
	v_add_co_ci_u32_e32 v65, vcc_lo, s13, v169, vcc_lo
	ds_read2_b64 v[156:159], v157 offset0:79 offset1:144
	ds_read2_b64 v[160:163], v160 offset0:67 offset1:132
	;; [unrolled: 1-line block ×6, first 2 shown]
	v_add_nc_u32_e32 v193, 0x145, v176
	v_add_nc_u32_e32 v250, 0x28a, v176
	;; [unrolled: 1-line block ×3, first 2 shown]
	v_mov_b32_e32 v188, v191
	v_mad_u64_u32 v[189:190], null, s2, v193, 0
	v_mad_u64_u32 v[191:192], null, s2, v250, 0
	v_lshlrev_b64 v[187:188], 4, v[187:188]
	v_mad_u64_u32 v[193:194], null, s3, v193, v[190:191]
	v_mov_b32_e32 v190, v193
	s_waitcnt vmcnt(19)
	v_mul_f64 v[204:205], v[44:45], v[62:63]
	s_waitcnt vmcnt(15)
	v_mul_f64 v[198:199], v[8:9], v[70:71]
	;; [unrolled: 2-line block ×5, first 2 shown]
	s_waitcnt lgkmcnt(6)
	v_mul_f64 v[78:79], v[152:153], v[78:79]
	v_mul_f64 v[82:83], v[146:147], v[82:83]
	;; [unrolled: 1-line block ×3, first 2 shown]
	s_waitcnt lgkmcnt(5)
	v_mul_f64 v[70:71], v[156:157], v[70:71]
	v_mul_f64 v[202:203], v[34:35], v[58:59]
	;; [unrolled: 1-line block ×8, first 2 shown]
	s_waitcnt vmcnt(11)
	v_mul_f64 v[214:215], v[26:27], v[86:87]
	s_waitcnt vmcnt(8)
	v_mul_f64 v[216:217], v[40:41], v[98:99]
	v_mul_f64 v[212:213], v[30:31], v[94:95]
	;; [unrolled: 1-line block ×3, first 2 shown]
	s_waitcnt lgkmcnt(3)
	v_mul_f64 v[94:95], v[166:167], v[94:95]
	v_mul_f64 v[98:99], v[148:149], v[98:99]
	;; [unrolled: 1-line block ×3, first 2 shown]
	s_waitcnt lgkmcnt(2)
	v_mul_f64 v[86:87], v[170:171], v[86:87]
	v_fma_f64 v[142:143], v[142:143], v[72:73], v[194:195]
	v_fma_f64 v[152:153], v[152:153], v[76:77], v[196:197]
	;; [unrolled: 1-line block ×4, first 2 shown]
	v_fma_f64 v[12:13], v[12:13], v[76:77], -v[78:79]
	v_fma_f64 v[38:39], v[38:39], v[80:81], -v[82:83]
	;; [unrolled: 1-line block ×4, first 2 shown]
	s_waitcnt vmcnt(4)
	v_mul_f64 v[68:69], v[18:19], v[114:115]
	v_mul_f64 v[70:71], v[28:29], v[102:103]
	;; [unrolled: 1-line block ×5, first 2 shown]
	s_waitcnt lgkmcnt(0)
	v_mul_f64 v[78:79], v[185:186], v[106:107]
	v_mul_f64 v[80:81], v[174:175], v[114:115]
	;; [unrolled: 1-line block ×3, first 2 shown]
	s_waitcnt vmcnt(3)
	v_mul_f64 v[102:103], v[16:17], v[118:119]
	s_waitcnt vmcnt(2)
	v_mul_f64 v[106:107], v[14:15], v[122:123]
	;; [unrolled: 2-line block ×3, first 2 shown]
	v_fma_f64 v[114:115], v[140:141], v[60:61], v[204:205]
	s_waitcnt vmcnt(0)
	v_mul_f64 v[140:141], v[20:21], v[130:131]
	v_mul_f64 v[122:123], v[154:155], v[122:123]
	v_fma_f64 v[44:45], v[44:45], v[60:61], -v[62:63]
	v_mul_f64 v[60:61], v[183:184], v[130:131]
	v_mul_f64 v[62:63], v[172:173], v[118:119]
	;; [unrolled: 1-line block ×3, first 2 shown]
	v_fma_f64 v[126:127], v[138:139], v[56:57], v[202:203]
	v_fma_f64 v[130:131], v[144:145], v[48:49], v[206:207]
	;; [unrolled: 1-line block ×3, first 2 shown]
	v_fma_f64 v[42:43], v[42:43], v[52:53], -v[54:55]
	v_fma_f64 v[34:35], v[34:35], v[56:57], -v[58:59]
	;; [unrolled: 1-line block ×3, first 2 shown]
	v_fma_f64 v[50:51], v[166:167], v[92:93], v[212:213]
	v_fma_f64 v[54:55], v[148:149], v[96:97], v[216:217]
	;; [unrolled: 1-line block ×4, first 2 shown]
	v_fma_f64 v[30:31], v[30:31], v[92:93], -v[94:95]
	v_fma_f64 v[40:41], v[40:41], v[96:97], -v[98:99]
	v_fma_f64 v[32:33], v[32:33], v[88:89], -v[90:91]
	v_fma_f64 v[26:27], v[26:27], v[84:85], -v[86:87]
	v_add_f64 v[56:57], v[142:143], -v[152:153]
	v_add_f64 v[58:59], v[156:157], -v[146:147]
	;; [unrolled: 1-line block ×3, first 2 shown]
	v_add_f64 v[86:87], v[152:153], v[146:147]
	v_add_f64 v[90:91], v[152:153], -v[142:143]
	v_add_f64 v[92:93], v[146:147], -v[156:157]
	v_add_f64 v[94:95], v[142:143], v[156:157]
	v_add_f64 v[96:97], v[152:153], v[179:180]
	v_add_f64 v[98:99], v[46:47], -v[12:13]
	v_add_f64 v[136:137], v[8:9], -v[38:39]
	v_add_f64 v[148:149], v[12:13], v[38:39]
	v_add_f64 v[150:151], v[152:153], -v[146:147]
	v_add_f64 v[152:153], v[12:13], -v[46:47]
	;; [unrolled: 1-line block ×3, first 2 shown]
	v_add_f64 v[170:171], v[46:47], v[8:9]
	v_add_f64 v[12:13], v[66:67], v[12:13]
	v_fma_f64 v[68:69], v[174:175], v[112:113], v[68:69]
	v_fma_f64 v[70:71], v[164:165], v[100:101], v[70:71]
	;; [unrolled: 1-line block ×4, first 2 shown]
	v_fma_f64 v[28:29], v[28:29], v[100:101], -v[76:77]
	v_fma_f64 v[76:77], v[22:23], v[104:105], -v[78:79]
	;; [unrolled: 1-line block ×4, first 2 shown]
	v_fma_f64 v[78:79], v[154:155], v[120:121], v[106:107]
	v_fma_f64 v[14:15], v[14:15], v[120:121], -v[122:123]
	v_fma_f64 v[60:61], v[20:21], v[128:129], -v[60:61]
	;; [unrolled: 1-line block ×4, first 2 shown]
	v_add_f64 v[20:21], v[126:127], -v[114:115]
	v_add_f64 v[62:63], v[130:131], -v[138:139]
	;; [unrolled: 1-line block ×4, first 2 shown]
	v_add_f64 v[112:113], v[114:115], v[162:163]
	v_fma_f64 v[22:23], v[172:173], v[116:117], v[102:103]
	v_fma_f64 v[80:81], v[158:159], v[124:125], v[110:111]
	v_add_f64 v[102:103], v[114:115], v[138:139]
	v_add_f64 v[110:111], v[126:127], v[130:131]
	v_add_f64 v[116:117], v[34:35], -v[44:45]
	v_add_f64 v[118:119], v[36:37], -v[42:43]
	;; [unrolled: 1-line block ×3, first 2 shown]
	v_add_f64 v[120:121], v[44:45], v[42:43]
	v_add_f64 v[124:125], v[44:45], -v[34:35]
	v_add_f64 v[44:45], v[6:7], v[44:45]
	v_add_f64 v[168:169], v[50:51], v[54:55]
	v_add_f64 v[88:89], v[46:47], -v[8:9]
	v_add_f64 v[144:145], v[142:143], -v[156:157]
	v_fma_f64 v[82:83], v[183:184], v[128:129], v[140:141]
	v_add_f64 v[122:123], v[126:127], -v[130:131]
	v_add_f64 v[128:129], v[42:43], -v[36:37]
	v_add_f64 v[154:155], v[48:49], -v[50:51]
	v_add_f64 v[158:159], v[52:53], -v[54:55]
	v_add_f64 v[164:165], v[30:31], -v[40:41]
	v_add_f64 v[185:186], v[48:49], v[52:53]
	v_add_f64 v[194:195], v[50:51], v[160:161]
	v_add_f64 v[196:197], v[32:33], -v[30:31]
	v_add_f64 v[198:199], v[26:27], -v[40:41]
	v_add_f64 v[200:201], v[30:31], v[40:41]
	v_add_f64 v[204:205], v[30:31], -v[32:33]
	v_add_f64 v[30:31], v[4:5], v[30:31]
	v_add_f64 v[56:57], v[56:57], v[58:59]
	v_fma_f64 v[58:59], v[86:87], -0.5, v[179:180]
	v_add_f64 v[86:87], v[90:91], v[92:93]
	v_fma_f64 v[90:91], v[94:95], -0.5, v[179:180]
	v_add_f64 v[92:93], v[142:143], v[96:97]
	v_add_f64 v[94:95], v[98:99], v[136:137]
	v_fma_f64 v[96:97], v[148:149], -0.5, v[66:67]
	v_add_f64 v[136:137], v[152:153], v[166:167]
	v_fma_f64 v[66:67], v[170:171], -0.5, v[66:67]
	v_add_f64 v[12:13], v[46:47], v[12:13]
	v_add_f64 v[46:47], v[68:69], -v[70:71]
	v_add_f64 v[98:99], v[72:73], -v[74:75]
	v_add_f64 v[148:149], v[70:71], v[74:75]
	v_add_f64 v[166:167], v[70:71], -v[68:69]
	v_add_f64 v[170:171], v[74:75], -v[72:73]
	v_add_f64 v[179:180], v[68:69], v[72:73]
	v_add_f64 v[216:217], v[28:29], v[76:77]
	;; [unrolled: 1-line block ×9, first 2 shown]
	v_add_f64 v[104:105], v[34:35], -v[36:37]
	v_add_f64 v[142:143], v[28:29], -v[76:77]
	;; [unrolled: 1-line block ×4, first 2 shown]
	v_add_f64 v[28:29], v[2:3], v[28:29]
	v_add_f64 v[230:231], v[14:15], -v[60:61]
	v_add_f64 v[244:245], v[16:17], -v[14:15]
	;; [unrolled: 1-line block ×3, first 2 shown]
	v_add_f64 v[116:117], v[116:117], v[118:119]
	v_add_f64 v[118:119], v[60:61], -v[10:11]
	v_add_f64 v[14:15], v[0:1], v[14:15]
	v_fma_f64 v[102:103], v[102:103], -0.5, v[162:163]
	v_fma_f64 v[110:111], v[110:111], -0.5, v[162:163]
	v_add_f64 v[172:173], v[32:33], -v[26:27]
	v_add_f64 v[34:35], v[34:35], v[44:45]
	v_fma_f64 v[44:45], v[168:169], -0.5, v[160:161]
	v_add_f64 v[174:175], v[50:51], -v[48:49]
	v_add_f64 v[183:184], v[54:55], -v[52:53]
	v_fma_f64 v[120:121], v[120:121], -0.5, v[6:7]
	v_add_f64 v[202:203], v[48:49], -v[52:53]
	v_add_f64 v[206:207], v[40:41], -v[26:27]
	v_add_f64 v[208:209], v[32:33], v[26:27]
	v_add_f64 v[152:153], v[18:19], -v[24:25]
	v_add_f64 v[210:211], v[70:71], v[134:135]
	v_add_f64 v[70:71], v[70:71], -v[74:75]
	v_add_f64 v[226:227], v[22:23], -v[78:79]
	v_add_f64 v[232:233], v[78:79], v[82:83]
	v_add_f64 v[236:237], v[78:79], -v[22:23]
	v_add_f64 v[242:243], v[78:79], v[132:133]
	;; [unrolled: 2-line block ×3, first 2 shown]
	v_add_f64 v[128:129], v[154:155], v[158:159]
	v_fma_f64 v[154:155], v[185:186], -0.5, v[160:161]
	v_add_f64 v[48:49], v[48:49], v[194:195]
	v_add_f64 v[158:159], v[196:197], v[198:199]
	v_fma_f64 v[160:161], v[200:201], -0.5, v[4:5]
	v_add_f64 v[30:31], v[32:33], v[30:31]
	v_fma_f64 v[32:33], v[88:89], s[16:17], v[58:59]
	v_fma_f64 v[58:59], v[88:89], s[14:15], v[58:59]
	;; [unrolled: 1-line block ×4, first 2 shown]
	v_add_f64 v[92:93], v[156:157], v[92:93]
	v_fma_f64 v[156:157], v[144:145], s[14:15], v[96:97]
	v_fma_f64 v[96:97], v[144:145], s[16:17], v[96:97]
	v_add_f64 v[8:9], v[12:13], v[8:9]
	v_add_f64 v[98:99], v[46:47], v[98:99]
	v_fma_f64 v[12:13], v[148:149], -0.5, v[134:135]
	v_add_f64 v[148:149], v[166:167], v[170:171]
	v_fma_f64 v[46:47], v[179:180], -0.5, v[134:135]
	v_fma_f64 v[166:167], v[216:217], -0.5, v[2:3]
	;; [unrolled: 1-line block ×5, first 2 shown]
	v_add_f64 v[114:115], v[114:115], -v[138:139]
	v_fma_f64 v[6:7], v[140:141], -0.5, v[6:7]
	v_add_f64 v[234:235], v[16:17], -v[10:11]
	v_add_f64 v[18:19], v[18:19], v[28:29]
	v_add_f64 v[112:113], v[112:113], v[118:119]
	;; [unrolled: 1-line block ×3, first 2 shown]
	v_fma_f64 v[16:17], v[104:105], s[16:17], v[102:103]
	v_fma_f64 v[102:103], v[104:105], s[14:15], v[102:103]
	;; [unrolled: 1-line block ×4, first 2 shown]
	v_add_f64 v[34:35], v[34:35], v[36:37]
	v_fma_f64 v[36:37], v[172:173], s[16:17], v[44:45]
	v_add_f64 v[140:141], v[174:175], v[183:184]
	v_fma_f64 v[174:175], v[150:151], s[16:17], v[66:67]
	v_fma_f64 v[66:67], v[150:151], s[14:15], v[66:67]
	v_add_f64 v[240:241], v[22:23], v[80:81]
	v_add_f64 v[108:109], v[130:131], v[108:109]
	v_fma_f64 v[126:127], v[122:123], s[14:15], v[120:121]
	v_fma_f64 v[120:121], v[122:123], s[16:17], v[120:121]
	v_add_f64 v[50:51], v[50:51], -v[54:55]
	v_add_f64 v[218:219], v[68:69], -v[72:73]
	;; [unrolled: 1-line block ×4, first 2 shown]
	v_add_f64 v[162:163], v[204:205], v[206:207]
	v_add_f64 v[68:69], v[68:69], v[210:211]
	v_fma_f64 v[28:29], v[232:233], -0.5, v[132:133]
	v_add_f64 v[185:186], v[22:23], v[242:243]
	v_add_f64 v[48:49], v[52:53], v[48:49]
	v_fma_f64 v[52:53], v[202:203], s[14:15], v[160:161]
	v_fma_f64 v[160:161], v[202:203], s[16:17], v[160:161]
	v_add_f64 v[30:31], v[30:31], v[26:27]
	v_fma_f64 v[32:33], v[84:85], s[6:7], v[32:33]
	v_fma_f64 v[58:59], v[84:85], s[10:11], v[58:59]
	;; [unrolled: 1-line block ×4, first 2 shown]
	v_add_f64 v[22:23], v[146:147], v[92:93]
	v_fma_f64 v[90:91], v[150:151], s[10:11], v[156:157]
	v_fma_f64 v[92:93], v[150:151], s[6:7], v[96:97]
	v_add_f64 v[20:21], v[8:9], v[38:39]
	v_fma_f64 v[8:9], v[152:153], s[16:17], v[12:13]
	v_fma_f64 v[12:13], v[152:153], s[14:15], v[12:13]
	;; [unrolled: 1-line block ×7, first 2 shown]
	v_fma_f64 v[4:5], v[208:209], -0.5, v[4:5]
	v_fma_f64 v[130:131], v[114:115], s[16:17], v[6:7]
	v_add_f64 v[246:247], v[10:11], -v[60:61]
	v_fma_f64 v[44:45], v[172:173], s[14:15], v[44:45]
	v_add_f64 v[18:19], v[18:19], v[24:25]
	v_add_f64 v[10:11], v[14:15], v[10:11]
	v_fma_f64 v[14:15], v[100:101], s[6:7], v[16:17]
	v_fma_f64 v[16:17], v[100:101], s[10:11], v[102:103]
	;; [unrolled: 1-line block ×5, first 2 shown]
	v_fma_f64 v[132:133], v[240:241], -0.5, v[132:133]
	v_add_f64 v[2:3], v[138:139], v[108:109]
	v_fma_f64 v[108:109], v[114:115], s[6:7], v[120:121]
	v_add_f64 v[214:215], v[24:25], -v[76:77]
	v_add_f64 v[228:229], v[80:81], -v[82:83]
	;; [unrolled: 1-line block ×3, first 2 shown]
	v_add_f64 v[170:171], v[220:221], v[222:223]
	v_fma_f64 v[6:7], v[114:115], s[14:15], v[6:7]
	v_fma_f64 v[198:199], v[164:165], s[14:15], v[154:155]
	;; [unrolled: 1-line block ×5, first 2 shown]
	v_add_f64 v[68:69], v[72:73], v[68:69]
	v_fma_f64 v[72:73], v[218:219], s[14:15], v[166:167]
	v_fma_f64 v[144:145], v[218:219], s[16:17], v[166:167]
	;; [unrolled: 1-line block ×4, first 2 shown]
	v_add_f64 v[80:81], v[80:81], v[185:186]
	v_fma_f64 v[185:186], v[248:249], s[14:15], v[196:197]
	v_fma_f64 v[196:197], v[248:249], s[16:17], v[196:197]
	;; [unrolled: 1-line block ×4, first 2 shown]
	v_add_f64 v[0:1], v[34:35], v[42:43]
	v_fma_f64 v[126:127], v[50:51], s[6:7], v[160:161]
	v_add_f64 v[24:25], v[30:31], v[40:41]
	v_fma_f64 v[30:31], v[56:57], s[4:5], v[32:33]
	v_fma_f64 v[38:39], v[86:87], s[4:5], v[84:85]
	;; [unrolled: 1-line block ×16, first 2 shown]
	v_add_f64 v[44:45], v[18:19], v[76:77]
	v_fma_f64 v[18:19], v[106:107], s[4:5], v[102:103]
	v_mad_u64_u32 v[102:103], null, s2, v251, 0
	v_add_f64 v[26:27], v[54:55], v[48:49]
	v_fma_f64 v[54:55], v[128:129], s[4:5], v[36:37]
	v_mov_b32_e32 v36, v192
	v_fma_f64 v[40:41], v[136:137], s[4:5], v[66:67]
	v_fma_f64 v[174:175], v[230:231], s[14:15], v[132:133]
	v_fma_f64 v[132:133], v[230:231], s[16:17], v[132:133]
	v_mov_b32_e32 v37, v103
	v_fma_f64 v[12:13], v[116:117], s[4:5], v[108:109]
	v_fma_f64 v[114:115], v[122:123], s[6:7], v[6:7]
	v_fma_f64 v[122:123], v[172:173], s[10:11], v[154:155]
	v_fma_f64 v[90:91], v[152:153], s[10:11], v[46:47]
	v_mad_u64_u32 v[108:109], null, s3, v250, v[36:37]
	v_add_f64 v[46:47], v[74:75], v[68:69]
	v_fma_f64 v[74:75], v[70:71], s[10:11], v[72:73]
	v_fma_f64 v[152:153], v[78:79], s[10:11], v[185:186]
	;; [unrolled: 1-line block ×8, first 2 shown]
	v_add_nc_u32_e32 v112, 0x514, v176
	v_fma_f64 v[138:139], v[202:203], s[6:7], v[4:5]
	v_fma_f64 v[4:5], v[124:125], s[4:5], v[110:111]
	v_mad_u64_u32 v[109:110], null, s3, v251, v[37:38]
	v_fma_f64 v[6:7], v[106:107], s[4:5], v[100:101]
	v_fma_f64 v[8:9], v[116:117], s[4:5], v[104:105]
	v_add_co_u32 v104, vcc_lo, v64, v187
	v_lshlrev_b64 v[106:107], 4, v[189:190]
	v_mad_u64_u32 v[110:111], null, s2, v112, 0
	v_add_co_ci_u32_e32 v105, vcc_lo, v65, v188, vcc_lo
	v_mov_b32_e32 v192, v108
	v_add_co_u32 v106, vcc_lo, v64, v106
	global_store_dwordx4 v[104:105], v[20:23], off
	v_add_co_ci_u32_e32 v107, vcc_lo, v65, v107, vcc_lo
	v_lshlrev_b64 v[21:22], 4, v[191:192]
	v_mov_b32_e32 v20, v111
	v_mov_b32_e32 v103, v109
	global_store_dwordx4 v[106:107], v[40:43], off
	v_add_nc_u32_e32 v107, 0x186, v176
	v_add_f64 v[183:184], v[236:237], v[238:239]
	v_mad_u64_u32 v[40:41], null, s3, v112, v[20:21]
	v_mad_u64_u32 v[41:42], null, s2, v177, 0
	v_fma_f64 v[132:133], v[234:235], s[10:11], v[132:133]
	v_add_co_u32 v20, vcc_lo, v64, v21
	v_fma_f64 v[34:35], v[56:57], s[4:5], v[58:59]
	v_add_co_ci_u32_e32 v21, vcc_lo, v65, v22, vcc_lo
	v_lshlrev_b64 v[22:23], 4, v[102:103]
	v_mad_u64_u32 v[102:103], null, s2, v107, 0
	v_fma_f64 v[36:37], v[136:137], s[4:5], v[146:147]
	v_mov_b32_e32 v111, v40
	v_mov_b32_e32 v40, v42
	v_add_co_u32 v22, vcc_lo, v64, v22
	v_add_co_ci_u32_e32 v23, vcc_lo, v65, v23, vcc_lo
	v_mad_u64_u32 v[104:105], null, s3, v177, v[40:41]
	v_mov_b32_e32 v40, v103
	v_lshlrev_b64 v[42:43], 4, v[110:111]
	v_add_nc_u32_e32 v110, 0x2cb, v176
	v_fma_f64 v[52:53], v[50:51], s[10:11], v[52:53]
	v_add_f64 v[50:51], v[82:83], v[80:81]
	v_mad_u64_u32 v[107:108], null, s3, v107, v[40:41]
	v_mad_u64_u32 v[108:109], null, s2, v110, 0
	v_add_co_u32 v105, vcc_lo, v64, v42
	v_add_f64 v[48:49], v[10:11], v[60:61]
	v_add_co_ci_u32_e32 v106, vcc_lo, v65, v43, vcc_lo
	v_fma_f64 v[100:101], v[183:184], s[4:5], v[132:133]
	v_mov_b32_e32 v42, v104
	global_store_dwordx4 v[20:21], v[32:35], off
	global_store_dwordx4 v[22:23], v[28:31], off
	;; [unrolled: 1-line block ×3, first 2 shown]
	v_add_nc_u32_e32 v34, 0x410, v176
	v_mov_b32_e32 v22, v109
	v_mov_b32_e32 v103, v107
	v_lshlrev_b64 v[20:21], 4, v[41:42]
	v_add_nc_u32_e32 v36, 0x555, v176
	v_mad_u64_u32 v[28:29], null, s2, v34, 0
	v_mad_u64_u32 v[22:23], null, s3, v110, v[22:23]
	v_lshlrev_b64 v[30:31], 4, v[102:103]
	v_add_f64 v[134:135], v[212:213], v[214:215]
	v_add_f64 v[179:180], v[226:227], v[228:229]
	;; [unrolled: 1-line block ×3, first 2 shown]
	v_fma_f64 v[92:93], v[70:71], s[6:7], v[144:145]
	v_fma_f64 v[144:145], v[230:231], s[10:11], v[168:169]
	v_add_co_u32 v20, vcc_lo, v64, v20
	v_mul_hi_u32 v37, 0xc9a633fd, v182
	v_fma_f64 v[142:143], v[230:231], s[6:7], v[166:167]
	v_fma_f64 v[150:151], v[234:235], s[6:7], v[174:175]
	v_add_co_ci_u32_e32 v21, vcc_lo, v65, v21, vcc_lo
	v_mad_u64_u32 v[32:33], null, s2, v36, 0
	v_mov_b32_e32 v23, v29
	v_add_co_u32 v29, vcc_lo, v64, v30
	v_mov_b32_e32 v109, v22
	v_add_co_ci_u32_e32 v30, vcc_lo, v65, v31, vcc_lo
	v_mad_u64_u32 v[34:35], null, s3, v34, v[23:24]
	v_lshrrev_b32_e32 v23, 8, v37
	global_store_dwordx4 v[20:21], v[48:51], off
	global_store_dwordx4 v[29:30], v[98:101], off
	v_lshlrev_b64 v[21:22], 4, v[108:109]
	v_mov_b32_e32 v20, v33
	v_fma_f64 v[84:85], v[148:149], s[4:5], v[90:91]
	v_mad_u32_u24 v38, 0x514, v23, v182
	v_mov_b32_e32 v29, v34
	v_fma_f64 v[70:71], v[134:135], s[4:5], v[74:75]
	v_mad_u64_u32 v[30:31], null, s3, v36, v[20:21]
	v_mad_u64_u32 v[34:35], null, s2, v38, 0
	v_add_nc_u32_e32 v37, 0x145, v38
	v_add_co_u32 v20, vcc_lo, v64, v21
	v_fma_f64 v[74:75], v[134:135], s[4:5], v[92:93]
	v_fma_f64 v[92:93], v[179:180], s[4:5], v[144:145]
	;; [unrolled: 1-line block ×6, first 2 shown]
	v_add_co_ci_u32_e32 v21, vcc_lo, v65, v22, vcc_lo
	v_lshlrev_b64 v[22:23], 4, v[28:29]
	v_mov_b32_e32 v33, v30
	v_mad_u64_u32 v[29:30], null, s2, v37, 0
	v_fma_f64 v[82:83], v[170:171], s[4:5], v[96:97]
	v_fma_f64 v[96:97], v[183:184], s[4:5], v[150:151]
	v_mov_b32_e32 v28, v35
	v_lshlrev_b64 v[31:32], 4, v[32:33]
	v_add_co_u32 v22, vcc_lo, v64, v22
	v_add_nc_u32_e32 v39, 0x28a, v38
	v_mad_u64_u32 v[35:36], null, s3, v38, v[28:29]
	v_mov_b32_e32 v28, v30
	v_add_co_ci_u32_e32 v23, vcc_lo, v65, v23, vcc_lo
	v_add_co_u32 v30, vcc_lo, v64, v31
	v_add_co_ci_u32_e32 v31, vcc_lo, v65, v32, vcc_lo
	v_mad_u64_u32 v[32:33], null, s3, v37, v[28:29]
	v_mad_u64_u32 v[36:37], null, s2, v39, 0
	v_add_nc_u32_e32 v40, 0x3cf, v38
	global_store_dwordx4 v[20:21], v[90:93], off
	global_store_dwordx4 v[22:23], v[86:89], off
	;; [unrolled: 1-line block ×3, first 2 shown]
	v_lshlrev_b64 v[20:21], 4, v[34:35]
	v_fma_f64 v[120:121], v[172:173], s[6:7], v[198:199]
	v_mov_b32_e32 v30, v32
	v_mad_u64_u32 v[31:32], null, s2, v40, 0
	v_mov_b32_e32 v22, v37
	v_add_co_u32 v20, vcc_lo, v64, v20
	v_lshlrev_b64 v[28:29], 4, v[29:30]
	v_add_nc_u32_e32 v30, 0x514, v38
	v_mad_u64_u32 v[22:23], null, s3, v39, v[22:23]
	v_add_co_ci_u32_e32 v21, vcc_lo, v65, v21, vcc_lo
	v_mad_u64_u32 v[33:34], null, s2, v30, 0
	v_mov_b32_e32 v23, v32
	v_mul_hi_u32 v32, 0xc9a633fd, v181
	v_add_co_u32 v28, vcc_lo, v64, v28
	v_mov_b32_e32 v37, v22
	v_add_co_ci_u32_e32 v29, vcc_lo, v65, v29, vcc_lo
	v_mad_u64_u32 v[38:39], null, s3, v40, v[23:24]
	global_store_dwordx4 v[20:21], v[44:47], off
	global_store_dwordx4 v[28:29], v[82:85], off
	v_lshlrev_b64 v[21:22], 4, v[36:37]
	v_mov_b32_e32 v20, v34
	v_lshrrev_b32_e32 v23, 8, v32
	v_fma_f64 v[130:131], v[202:203], s[10:11], v[200:201]
	v_fma_f64 v[68:69], v[140:141], s[4:5], v[122:123]
	v_mov_b32_e32 v32, v38
	v_mad_u64_u32 v[28:29], null, s3, v30, v[20:21]
	v_mad_u32_u24 v37, 0x514, v23, v181
	v_add_co_u32 v20, vcc_lo, v64, v21
	v_add_co_ci_u32_e32 v21, vcc_lo, v65, v22, vcc_lo
	v_add_nc_u32_e32 v38, 0x145, v37
	v_lshlrev_b64 v[22:23], 4, v[31:32]
	v_mov_b32_e32 v34, v28
	v_mad_u64_u32 v[29:30], null, s2, v37, 0
	v_mad_u64_u32 v[31:32], null, s2, v38, 0
	v_add_co_u32 v22, vcc_lo, v64, v22
	v_lshlrev_b64 v[33:34], 4, v[33:34]
	v_add_co_ci_u32_e32 v23, vcc_lo, v65, v23, vcc_lo
	v_mov_b32_e32 v28, v30
	global_store_dwordx4 v[20:21], v[74:77], off
	global_store_dwordx4 v[22:23], v[70:73], off
	v_mov_b32_e32 v20, v32
	v_add_co_u32 v21, vcc_lo, v64, v33
	v_mad_u64_u32 v[35:36], null, s3, v37, v[28:29]
	v_add_co_ci_u32_e32 v22, vcc_lo, v65, v34, vcc_lo
	v_mad_u64_u32 v[32:33], null, s3, v38, v[20:21]
	v_add_nc_u32_e32 v33, 0x28a, v37
	global_store_dwordx4 v[21:22], v[78:81], off
	v_mov_b32_e32 v30, v35
	v_add_nc_u32_e32 v34, 0x3cf, v37
	v_add_nc_u32_e32 v36, 0x514, v37
	v_mad_u64_u32 v[22:23], null, s2, v33, 0
	v_lshlrev_b64 v[20:21], 4, v[29:30]
	v_mad_u64_u32 v[28:29], null, s2, v34, 0
	v_lshlrev_b64 v[30:31], 4, v[31:32]
	v_fma_f64 v[66:67], v[162:163], s[4:5], v[138:139]
	v_fma_f64 v[58:59], v[128:129], s[4:5], v[118:119]
	v_mad_u64_u32 v[32:33], null, s3, v33, v[23:24]
	v_add_co_u32 v20, vcc_lo, v64, v20
	v_mad_u64_u32 v[33:34], null, s3, v34, v[29:30]
	v_mad_u64_u32 v[34:35], null, s2, v36, 0
	v_add_co_ci_u32_e32 v21, vcc_lo, v65, v21, vcc_lo
	v_mov_b32_e32 v23, v32
	v_mul_hi_u32 v32, 0xc9a633fd, v178
	v_fma_f64 v[52:53], v[158:159], s[4:5], v[52:53]
	global_store_dwordx4 v[20:21], v[24:27], off
	v_fma_f64 v[56:57], v[158:159], s[4:5], v[126:127]
	v_lshlrev_b64 v[21:22], 4, v[22:23]
	v_mov_b32_e32 v20, v35
	v_mov_b32_e32 v29, v33
	v_add_co_u32 v30, vcc_lo, v64, v30
	v_add_co_ci_u32_e32 v31, vcc_lo, v65, v31, vcc_lo
	v_mad_u64_u32 v[25:26], null, s3, v36, v[20:21]
	v_lshrrev_b32_e32 v26, 8, v32
	v_lshlrev_b64 v[23:24], 4, v[28:29]
	v_add_co_u32 v20, vcc_lo, v64, v21
	v_add_co_ci_u32_e32 v21, vcc_lo, v65, v22, vcc_lo
	v_mad_u32_u24 v32, 0x514, v26, v178
	v_add_co_u32 v22, vcc_lo, v64, v23
	v_fma_f64 v[10:11], v[62:63], s[4:5], v[14:15]
	v_fma_f64 v[14:15], v[62:63], s[4:5], v[16:17]
	v_add_nc_u32_e32 v33, 0x28a, v32
	v_fma_f64 v[62:63], v[140:141], s[4:5], v[120:121]
	v_fma_f64 v[60:61], v[162:163], s[4:5], v[130:131]
	global_store_dwordx4 v[30:31], v[66:69], off
	v_add_co_ci_u32_e32 v23, vcc_lo, v65, v24, vcc_lo
	v_add_nc_u32_e32 v30, 0x145, v32
	v_mov_b32_e32 v35, v25
	v_mad_u64_u32 v[24:25], null, s2, v32, 0
	v_mad_u64_u32 v[26:27], null, s2, v33, 0
	global_store_dwordx4 v[20:21], v[56:59], off
	global_store_dwordx4 v[22:23], v[52:55], off
	v_mad_u64_u32 v[22:23], null, s2, v30, 0
	v_lshlrev_b64 v[20:21], 4, v[34:35]
	v_add_nc_u32_e32 v35, 0x3cf, v32
	v_mad_u64_u32 v[28:29], null, s3, v32, v[25:26]
	v_add_nc_u32_e32 v36, 0x514, v32
	v_fma_f64 v[16:17], v[124:125], s[4:5], v[114:115]
	v_mad_u64_u32 v[29:30], null, s3, v30, v[23:24]
	v_mov_b32_e32 v23, v27
	v_mad_u64_u32 v[30:31], null, s2, v35, 0
	v_add_co_u32 v20, vcc_lo, v64, v20
	v_add_co_ci_u32_e32 v21, vcc_lo, v65, v21, vcc_lo
	v_mad_u64_u32 v[32:33], null, s3, v33, v[23:24]
	v_mad_u64_u32 v[33:34], null, s2, v36, 0
	global_store_dwordx4 v[20:21], v[60:63], off
	v_mov_b32_e32 v20, v31
	v_mov_b32_e32 v23, v29
	;; [unrolled: 1-line block ×4, first 2 shown]
	v_mad_u64_u32 v[20:21], null, s3, v35, v[20:21]
	v_lshlrev_b64 v[22:23], 4, v[22:23]
	v_mov_b32_e32 v21, v34
	v_lshlrev_b64 v[24:25], 4, v[24:25]
	v_lshlrev_b64 v[26:27], 4, v[26:27]
	v_mad_u64_u32 v[28:29], null, s3, v36, v[21:22]
	v_add_co_u32 v24, vcc_lo, v64, v24
	v_mov_b32_e32 v31, v20
	v_add_co_ci_u32_e32 v25, vcc_lo, v65, v25, vcc_lo
	v_add_co_u32 v20, vcc_lo, v64, v22
	v_mov_b32_e32 v34, v28
	v_add_co_ci_u32_e32 v21, vcc_lo, v65, v23, vcc_lo
	v_lshlrev_b64 v[22:23], 4, v[30:31]
	v_add_co_u32 v26, vcc_lo, v64, v26
	v_lshlrev_b64 v[28:29], 4, v[33:34]
	v_add_co_ci_u32_e32 v27, vcc_lo, v65, v27, vcc_lo
	v_add_co_u32 v22, vcc_lo, v64, v22
	v_add_co_ci_u32_e32 v23, vcc_lo, v65, v23, vcc_lo
	v_add_co_u32 v28, vcc_lo, v64, v28
	v_add_co_ci_u32_e32 v29, vcc_lo, v65, v29, vcc_lo
	global_store_dwordx4 v[24:25], v[0:3], off
	global_store_dwordx4 v[20:21], v[16:19], off
	;; [unrolled: 1-line block ×5, first 2 shown]
.LBB0_19:
	s_endpgm
	.section	.rodata,"a",@progbits
	.p2align	6, 0x0
	.amdhsa_kernel fft_rtc_fwd_len1625_factors_13_5_5_5_wgs_130_tpt_65_halfLds_dp_ip_CI_sbrr_dirReg
		.amdhsa_group_segment_fixed_size 0
		.amdhsa_private_segment_fixed_size 0
		.amdhsa_kernarg_size 88
		.amdhsa_user_sgpr_count 6
		.amdhsa_user_sgpr_private_segment_buffer 1
		.amdhsa_user_sgpr_dispatch_ptr 0
		.amdhsa_user_sgpr_queue_ptr 0
		.amdhsa_user_sgpr_kernarg_segment_ptr 1
		.amdhsa_user_sgpr_dispatch_id 0
		.amdhsa_user_sgpr_flat_scratch_init 0
		.amdhsa_user_sgpr_private_segment_size 0
		.amdhsa_wavefront_size32 1
		.amdhsa_uses_dynamic_stack 0
		.amdhsa_system_sgpr_private_segment_wavefront_offset 0
		.amdhsa_system_sgpr_workgroup_id_x 1
		.amdhsa_system_sgpr_workgroup_id_y 0
		.amdhsa_system_sgpr_workgroup_id_z 0
		.amdhsa_system_sgpr_workgroup_info 0
		.amdhsa_system_vgpr_workitem_id 0
		.amdhsa_next_free_vgpr 253
		.amdhsa_next_free_sgpr 46
		.amdhsa_reserve_vcc 1
		.amdhsa_reserve_flat_scratch 0
		.amdhsa_float_round_mode_32 0
		.amdhsa_float_round_mode_16_64 0
		.amdhsa_float_denorm_mode_32 3
		.amdhsa_float_denorm_mode_16_64 3
		.amdhsa_dx10_clamp 1
		.amdhsa_ieee_mode 1
		.amdhsa_fp16_overflow 0
		.amdhsa_workgroup_processor_mode 1
		.amdhsa_memory_ordered 1
		.amdhsa_forward_progress 0
		.amdhsa_shared_vgpr_count 0
		.amdhsa_exception_fp_ieee_invalid_op 0
		.amdhsa_exception_fp_denorm_src 0
		.amdhsa_exception_fp_ieee_div_zero 0
		.amdhsa_exception_fp_ieee_overflow 0
		.amdhsa_exception_fp_ieee_underflow 0
		.amdhsa_exception_fp_ieee_inexact 0
		.amdhsa_exception_int_div_zero 0
	.end_amdhsa_kernel
	.text
.Lfunc_end0:
	.size	fft_rtc_fwd_len1625_factors_13_5_5_5_wgs_130_tpt_65_halfLds_dp_ip_CI_sbrr_dirReg, .Lfunc_end0-fft_rtc_fwd_len1625_factors_13_5_5_5_wgs_130_tpt_65_halfLds_dp_ip_CI_sbrr_dirReg
                                        ; -- End function
	.section	.AMDGPU.csdata,"",@progbits
; Kernel info:
; codeLenInByte = 23504
; NumSgprs: 48
; NumVgprs: 253
; ScratchSize: 0
; MemoryBound: 1
; FloatMode: 240
; IeeeMode: 1
; LDSByteSize: 0 bytes/workgroup (compile time only)
; SGPRBlocks: 5
; VGPRBlocks: 31
; NumSGPRsForWavesPerEU: 48
; NumVGPRsForWavesPerEU: 253
; Occupancy: 4
; WaveLimiterHint : 1
; COMPUTE_PGM_RSRC2:SCRATCH_EN: 0
; COMPUTE_PGM_RSRC2:USER_SGPR: 6
; COMPUTE_PGM_RSRC2:TRAP_HANDLER: 0
; COMPUTE_PGM_RSRC2:TGID_X_EN: 1
; COMPUTE_PGM_RSRC2:TGID_Y_EN: 0
; COMPUTE_PGM_RSRC2:TGID_Z_EN: 0
; COMPUTE_PGM_RSRC2:TIDIG_COMP_CNT: 0
	.text
	.p2alignl 6, 3214868480
	.fill 48, 4, 3214868480
	.type	__hip_cuid_aacd1478c1b3ae4d,@object ; @__hip_cuid_aacd1478c1b3ae4d
	.section	.bss,"aw",@nobits
	.globl	__hip_cuid_aacd1478c1b3ae4d
__hip_cuid_aacd1478c1b3ae4d:
	.byte	0                               ; 0x0
	.size	__hip_cuid_aacd1478c1b3ae4d, 1

	.ident	"AMD clang version 19.0.0git (https://github.com/RadeonOpenCompute/llvm-project roc-6.4.0 25133 c7fe45cf4b819c5991fe208aaa96edf142730f1d)"
	.section	".note.GNU-stack","",@progbits
	.addrsig
	.addrsig_sym __hip_cuid_aacd1478c1b3ae4d
	.amdgpu_metadata
---
amdhsa.kernels:
  - .args:
      - .actual_access:  read_only
        .address_space:  global
        .offset:         0
        .size:           8
        .value_kind:     global_buffer
      - .offset:         8
        .size:           8
        .value_kind:     by_value
      - .actual_access:  read_only
        .address_space:  global
        .offset:         16
        .size:           8
        .value_kind:     global_buffer
      - .actual_access:  read_only
        .address_space:  global
        .offset:         24
        .size:           8
        .value_kind:     global_buffer
      - .offset:         32
        .size:           8
        .value_kind:     by_value
      - .actual_access:  read_only
        .address_space:  global
        .offset:         40
        .size:           8
        .value_kind:     global_buffer
      - .actual_access:  read_only
        .address_space:  global
        .offset:         48
        .size:           8
        .value_kind:     global_buffer
      - .offset:         56
        .size:           4
        .value_kind:     by_value
      - .actual_access:  read_only
        .address_space:  global
        .offset:         64
        .size:           8
        .value_kind:     global_buffer
      - .actual_access:  read_only
        .address_space:  global
        .offset:         72
        .size:           8
        .value_kind:     global_buffer
      - .address_space:  global
        .offset:         80
        .size:           8
        .value_kind:     global_buffer
    .group_segment_fixed_size: 0
    .kernarg_segment_align: 8
    .kernarg_segment_size: 88
    .language:       OpenCL C
    .language_version:
      - 2
      - 0
    .max_flat_workgroup_size: 130
    .name:           fft_rtc_fwd_len1625_factors_13_5_5_5_wgs_130_tpt_65_halfLds_dp_ip_CI_sbrr_dirReg
    .private_segment_fixed_size: 0
    .sgpr_count:     48
    .sgpr_spill_count: 0
    .symbol:         fft_rtc_fwd_len1625_factors_13_5_5_5_wgs_130_tpt_65_halfLds_dp_ip_CI_sbrr_dirReg.kd
    .uniform_work_group_size: 1
    .uses_dynamic_stack: false
    .vgpr_count:     253
    .vgpr_spill_count: 0
    .wavefront_size: 32
    .workgroup_processor_mode: 1
amdhsa.target:   amdgcn-amd-amdhsa--gfx1030
amdhsa.version:
  - 1
  - 2
...

	.end_amdgpu_metadata
